;; amdgpu-corpus repo=LLNL/RAJAPerf kind=compiled arch=gfx1030 opt=O3
	.amdgcn_target "amdgcn-amd-amdhsa--gfx1030"
	.amdhsa_code_object_version 6
	.section	.text._ZN8rajaperf4apps10FEMSweep3DILm64EEEvPdS2_S2_S2_S2_S2_lllPlS3_S3_S3_S3_S3_S3_S3_S3_,"axG",@progbits,_ZN8rajaperf4apps10FEMSweep3DILm64EEEvPdS2_S2_S2_S2_S2_lllPlS3_S3_S3_S3_S3_S3_S3_S3_,comdat
	.protected	_ZN8rajaperf4apps10FEMSweep3DILm64EEEvPdS2_S2_S2_S2_S2_lllPlS3_S3_S3_S3_S3_S3_S3_S3_ ; -- Begin function _ZN8rajaperf4apps10FEMSweep3DILm64EEEvPdS2_S2_S2_S2_S2_lllPlS3_S3_S3_S3_S3_S3_S3_S3_
	.globl	_ZN8rajaperf4apps10FEMSweep3DILm64EEEvPdS2_S2_S2_S2_S2_lllPlS3_S3_S3_S3_S3_S3_S3_S3_
	.p2align	8
	.type	_ZN8rajaperf4apps10FEMSweep3DILm64EEEvPdS2_S2_S2_S2_S2_lllPlS3_S3_S3_S3_S3_S3_S3_S3_,@function
_ZN8rajaperf4apps10FEMSweep3DILm64EEEvPdS2_S2_S2_S2_S2_lllPlS3_S3_S3_S3_S3_S3_S3_S3_: ; @_ZN8rajaperf4apps10FEMSweep3DILm64EEEvPdS2_S2_S2_S2_S2_lllPlS3_S3_S3_S3_S3_S3_S3_S3_
; %bb.0:
	s_clause 0x1
	s_load_dwordx16 s[8:23], s[4:5], 0x40
	s_load_dwordx16 s[36:51], s[4:5], 0x0
	s_mov_b32 s24, s7
	s_mov_b32 s25, 0
	s_lshl_b64 s[0:1], s[24:25], 3
	s_waitcnt lgkmcnt(0)
	s_add_u32 s10, s10, s0
	s_mul_i32 s2, s49, s7
	s_mul_hi_u32 s3, s48, s7
	s_addc_u32 s11, s11, s1
	s_add_u32 s12, s12, s0
	s_addc_u32 s13, s13, s1
	s_add_i32 s27, s3, s2
	s_mul_i32 s26, s48, s7
	s_lshl_b64 s[2:3], s[26:27], 3
	s_add_u32 s0, s16, s2
	s_addc_u32 s1, s17, s3
	s_load_dwordx2 s[0:1], s[0:1], 0x0
	s_waitcnt lgkmcnt(0)
	s_add_u32 s0, s0, s26
	s_addc_u32 s1, s1, s27
	s_lshl_b64 s[0:1], s[0:1], 9
	s_add_u32 s0, s38, s0
	s_addc_u32 s1, s39, s1
	s_load_dwordx2 s[0:1], s[0:1], 0x0
	s_waitcnt lgkmcnt(0)
	v_cmp_ngt_f64_e64 s7, 0x41d00000, |s[0:1]|
	s_and_b32 vcc_lo, exec_lo, s7
	s_cbranch_vccz .LBB0_2
; %bb.1:
	v_ldexp_f64 v[1:2], |s[0:1]|, 0xffffff80
	v_cmp_le_f64_e64 vcc_lo, 0x7b000000, |s[0:1]|
	v_trig_preop_f64 v[3:4], |s[0:1]|, 0
	s_and_b32 s7, s1, 0x7fffffff
	v_trig_preop_f64 v[5:6], |s[0:1]|, 1
	v_trig_preop_f64 v[15:16], |s[0:1]|, 2
	s_mov_b32 s28, s25
	s_mov_b32 s30, 0x33145c07
	;; [unrolled: 1-line block ×3, first 2 shown]
	v_cndmask_b32_e32 v2, s7, v2, vcc_lo
	v_cndmask_b32_e32 v1, s0, v1, vcc_lo
	v_mul_f64 v[7:8], v[3:4], v[1:2]
	v_mul_f64 v[9:10], v[5:6], v[1:2]
	;; [unrolled: 1-line block ×3, first 2 shown]
	v_fma_f64 v[3:4], v[3:4], v[1:2], -v[7:8]
	v_fma_f64 v[5:6], v[5:6], v[1:2], -v[9:10]
	;; [unrolled: 1-line block ×3, first 2 shown]
	v_add_f64 v[11:12], v[9:10], v[3:4]
	v_add_f64 v[13:14], v[11:12], -v[9:10]
	v_add_f64 v[19:20], v[7:8], v[11:12]
	v_add_f64 v[17:18], v[11:12], -v[13:14]
	v_add_f64 v[3:4], v[3:4], -v[13:14]
	v_ldexp_f64 v[13:14], v[19:20], -2
	v_add_f64 v[7:8], v[19:20], -v[7:8]
	v_add_f64 v[9:10], v[9:10], -v[17:18]
	v_add_f64 v[17:18], v[21:22], v[5:6]
	v_cmp_neq_f64_e64 vcc_lo, 0x7ff00000, |v[13:14]|
	v_add_f64 v[7:8], v[11:12], -v[7:8]
	v_add_f64 v[3:4], v[3:4], v[9:10]
	v_fract_f64_e32 v[9:10], v[13:14]
	v_add_f64 v[11:12], v[17:18], v[3:4]
	v_ldexp_f64 v[9:10], v[9:10], 2
	v_add_f64 v[13:14], v[7:8], v[11:12]
	v_cndmask_b32_e32 v10, 0, v10, vcc_lo
	v_cndmask_b32_e32 v9, 0, v9, vcc_lo
	v_add_f64 v[23:24], v[11:12], -v[17:18]
	v_add_f64 v[19:20], v[13:14], v[9:10]
	v_add_f64 v[7:8], v[13:14], -v[7:8]
	v_add_f64 v[29:30], v[11:12], -v[23:24]
	;; [unrolled: 1-line block ×3, first 2 shown]
	v_cmp_gt_f64_e32 vcc_lo, 0, v[19:20]
	v_add_f64 v[19:20], v[17:18], -v[21:22]
	v_add_f64 v[7:8], v[11:12], -v[7:8]
	s_and_b32 s7, vcc_lo, exec_lo
	s_cselect_b32 s29, 0x40100000, 0
	v_add_f64 v[27:28], v[17:18], -v[19:20]
	v_add_f64 v[9:10], v[9:10], s[28:29]
	v_add_f64 v[5:6], v[5:6], -v[19:20]
	v_add_f64 v[17:18], v[17:18], -v[29:30]
	;; [unrolled: 1-line block ×3, first 2 shown]
	v_add_f64 v[25:26], v[13:14], v[9:10]
	v_add_f64 v[3:4], v[3:4], v[17:18]
	;; [unrolled: 1-line block ×3, first 2 shown]
	v_cvt_i32_f64_e32 v25, v[25:26]
	v_add_f64 v[3:4], v[5:6], v[3:4]
	v_cvt_f64_i32_e32 v[23:24], v25
	v_readfirstlane_b32 s7, v25
	v_add_f64 v[1:2], v[1:2], v[3:4]
	v_add_f64 v[9:10], v[9:10], -v[23:24]
	v_add_f64 v[1:2], v[7:8], v[1:2]
	v_add_f64 v[5:6], v[13:14], v[9:10]
	v_add_f64 v[3:4], v[5:6], -v[9:10]
	v_cmp_le_f64_e32 vcc_lo, 0.5, v[5:6]
	v_add_f64 v[3:4], v[13:14], -v[3:4]
	s_cmp_lg_u32 vcc_lo, 0
	s_addc_u32 s7, s7, 0
	s_and_b32 s29, vcc_lo, exec_lo
	s_cselect_b32 s29, 0x3ff00000, 0
	v_add_f64 v[1:2], v[1:2], v[3:4]
	v_add_f64 v[3:4], v[5:6], -s[28:29]
	s_mov_b32 s28, 0x54442d18
	s_mov_b32 s29, 0x3ff921fb
	v_add_f64 v[5:6], v[3:4], v[1:2]
	v_mul_f64 v[7:8], v[5:6], s[28:29]
	v_add_f64 v[3:4], v[5:6], -v[3:4]
	v_fma_f64 v[9:10], v[5:6], s[28:29], -v[7:8]
	v_add_f64 v[1:2], v[1:2], -v[3:4]
	v_fma_f64 v[3:4], v[5:6], s[30:31], v[9:10]
	v_fma_f64 v[3:4], v[1:2], s[28:29], v[3:4]
	v_add_f64 v[1:2], v[7:8], v[3:4]
	v_add_f64 v[5:6], v[1:2], -v[7:8]
	v_add_f64 v[3:4], v[3:4], -v[5:6]
	s_load_dwordx2 s[10:11], s[10:11], 0x0
	s_andn2_b32 vcc_lo, exec_lo, s25
	s_cbranch_vccz .LBB0_3
	s_branch .LBB0_4
.LBB0_2:
                                        ; implicit-def: $sgpr7
                                        ; implicit-def: $vgpr1_vgpr2
                                        ; implicit-def: $vgpr3_vgpr4
	s_load_dwordx2 s[10:11], s[10:11], 0x0
.LBB0_3:
	s_mov_b32 s28, 0x6dc9c883
	s_mov_b32 s29, 0x3fe45f30
	;; [unrolled: 1-line block ×3, first 2 shown]
	v_mul_f64 v[1:2], |s[0:1]|, s[28:29]
	s_mov_b32 s28, 0x54442d18
	s_mov_b32 s29, 0xbff921fb
	;; [unrolled: 1-line block ×3, first 2 shown]
	v_rndne_f64_e32 v[3:4], v[1:2]
	v_fma_f64 v[1:2], v[3:4], s[28:29], |s[0:1]|
	v_mul_f64 v[5:6], v[3:4], s[30:31]
	s_mov_b32 s28, 0x252049c0
	s_mov_b32 s29, 0xb97b839a
	v_fma_f64 v[11:12], v[3:4], s[30:31], v[1:2]
	v_add_f64 v[7:8], v[1:2], v[5:6]
	s_mov_b32 s31, 0x3c91a626
	v_add_f64 v[9:10], v[1:2], -v[7:8]
	v_add_f64 v[7:8], v[7:8], -v[11:12]
	v_add_f64 v[1:2], v[9:10], v[5:6]
	v_fma_f64 v[5:6], v[3:4], s[30:31], v[5:6]
	v_cvt_i32_f64_e32 v9, v[3:4]
	v_add_f64 v[1:2], v[7:8], v[1:2]
	v_readfirstlane_b32 s7, v9
	v_add_f64 v[1:2], v[1:2], -v[5:6]
	v_fma_f64 v[5:6], v[3:4], s[28:29], v[1:2]
	v_add_f64 v[1:2], v[11:12], v[5:6]
	v_add_f64 v[7:8], v[1:2], -v[11:12]
	v_add_f64 v[3:4], v[5:6], -v[7:8]
.LBB0_4:
	s_waitcnt lgkmcnt(0)
	v_cmp_lt_i64_e64 s25, s[10:11], 1
	s_and_b32 vcc_lo, exec_lo, s25
	s_cbranch_vccnz .LBB0_22
; %bb.5:
	v_mul_f64 v[5:6], v[1:2], v[1:2]
	s_mov_b32 s28, 0xb42fdfa7
	s_mov_b32 s30, 0xf9a43bb8
	;; [unrolled: 1-line block ×6, first 2 shown]
	v_mul_f64 v[15:16], v[3:4], 0.5
	v_cmp_class_f64_e64 s0, s[0:1], 0x1f8
	s_bitcmp0_b32 s7, 0
	s_load_dwordx2 s[12:13], s[12:13], 0x0
	s_cselect_b32 vcc_lo, -1, 0
	s_lshl_b32 s7, s7, 30
	s_mul_i32 s25, s26, s51
	s_xor_b32 s1, s7, s1
	s_mul_i32 s33, s49, s6
	s_and_b32 s1, s1, 0x80000000
	s_mul_i32 s9, s9, s24
	s_mul_i32 s52, s27, 48
	s_mul_hi_u32 s53, s26, 48
	v_fma_f64 v[7:8], v[5:6], s[30:31], s[28:29]
	s_mov_b32 s28, 0x9037ab78
	s_mov_b32 s30, 0x46cc5e42
	;; [unrolled: 1-line block ×4, first 2 shown]
	v_mul_f64 v[11:12], v[5:6], 0.5
	v_fma_f64 v[9:10], v[5:6], s[30:31], s[28:29]
	s_mov_b32 s28, 0xa17f65f6
	s_mov_b32 s30, 0x19e83e5c
	;; [unrolled: 1-line block ×4, first 2 shown]
	v_mul_f64 v[17:18], v[1:2], -v[5:6]
	v_fma_f64 v[7:8], v[5:6], v[7:8], s[34:35]
	s_mul_hi_u32 s34, s48, s6
	s_mul_hi_u32 s35, s8, s24
	s_mul_i32 s8, s8, s24
	s_add_i32 s7, s34, s33
	v_add_f64 v[13:14], -v[11:12], 1.0
	v_fma_f64 v[9:10], v[5:6], v[9:10], s[28:29]
	s_mov_b32 s28, 0x19f4ec90
	s_mov_b32 s29, 0x3efa01a0
	s_add_i32 s9, s35, s9
	s_mul_i32 s6, s48, s6
	v_fma_f64 v[7:8], v[5:6], v[7:8], s[30:31]
	s_mov_b32 s30, 0x11110bb3
	s_mov_b32 s31, 0x3f811111
	v_add_f64 v[19:20], -v[13:14], 1.0
	v_fma_f64 v[9:10], v[5:6], v[9:10], s[28:29]
	s_mov_b32 s28, 0x16c16967
	s_mov_b32 s29, 0xbf56c16c
	v_fma_f64 v[7:8], v[5:6], v[7:8], s[30:31]
	s_mul_i32 s30, s51, s24
	s_mul_hi_u32 s31, s50, s24
	s_mul_i32 s51, s50, s24
	v_add_f64 v[11:12], v[19:20], -v[11:12]
	v_fma_f64 v[9:10], v[5:6], v[9:10], s[28:29]
	s_mov_b32 s29, 0x3fa55555
	s_mov_b32 s28, 0x55555555
	s_mul_i32 s24, s51, s49
	s_mul_hi_u32 s49, s51, s48
	v_fma_f64 v[7:8], v[17:18], v[7:8], v[15:16]
	v_mul_f64 v[15:16], v[5:6], v[5:6]
	v_fma_f64 v[11:12], v[1:2], -v[3:4], v[11:12]
	v_fma_f64 v[9:10], v[5:6], v[9:10], s[28:29]
	s_mov_b32 s29, 0xbfc55555
	v_fma_f64 v[3:4], v[5:6], v[7:8], -v[3:4]
	v_fma_f64 v[5:6], v[15:16], v[9:10], v[11:12]
	v_fma_f64 v[3:4], v[17:18], s[28:29], v[3:4]
	s_mul_hi_u32 s28, s26, s50
	s_mul_i32 s29, s27, s50
	s_add_i32 s25, s28, s25
	s_add_i32 s28, s31, s30
	;; [unrolled: 1-line block ×3, first 2 shown]
	v_add_f64 v[5:6], v[13:14], v[5:6]
	s_mul_i32 s28, s28, s48
	v_add_f64 v[1:2], v[1:2], -v[3:4]
	v_cndmask_b32_e32 v2, v6, v2, vcc_lo
	v_cndmask_b32_e32 v1, v5, v1, vcc_lo
	v_xor_b32_e32 v2, s1, v2
	v_cndmask_b32_e64 v1, 0, v1, s0
	v_cndmask_b32_e64 v2, 0x7ff80000, v2, s0
	s_waitcnt lgkmcnt(0)
	s_lshl_b64 s[0:1], s[12:13], 3
	s_add_u32 s30, s14, s0
	s_addc_u32 s31, s15, s1
	v_add_f64 v[1:2], v[1:2], -2.0
	s_add_i32 s12, s49, s24
	s_lshl_b64 s[0:1], s[26:27], 6
	s_lshl_b64 s[24:25], s[8:9], 8
	s_add_i32 s9, s12, s28
	s_add_u32 s33, s36, s0
	s_addc_u32 s34, s37, s1
	s_lshl_b64 s[0:1], s[26:27], 9
	s_mul_i32 s8, s26, 48
	s_add_u32 s35, s38, s0
	s_addc_u32 s36, s39, s1
	s_add_i32 s53, s53, s52
	s_add_u32 s18, s18, s8
	s_addc_u32 s19, s19, s53
	s_lshl_b64 s[0:1], s[6:7], 6
	s_mul_i32 s8, s51, s48
	s_add_u32 s27, s42, s0
	s_load_dwordx4 s[12:15], s[4:5], 0x80
	s_addc_u32 s48, s43, s1
	s_lshl_b64 s[0:1], s[8:9], 6
	s_mul_i32 s28, s26, s50
	s_add_u32 s37, s27, s0
	v_max_f64 v[146:147], v[1:2], 0
	s_addc_u32 s38, s48, s1
	s_lshl_b64 s[0:1], s[6:7], 3
	v_lshlrev_b32_e32 v2, 3, v0
	s_add_u32 s39, s44, s0
	s_addc_u32 s42, s45, s1
	s_lshl_b64 s[0:1], s[28:29], 6
	v_mov_b32_e32 v1, 0
	s_add_u32 s43, s27, s0
	s_addc_u32 s44, s48, s1
	s_add_u32 s0, s16, s2
	s_addc_u32 s1, s17, s3
	v_add_co_u32 v164, s0, s0, v2
	v_add_co_ci_u32_e64 v165, null, s1, 0, s0
	s_mov_b64 s[16:17], 0
	s_mov_b64 s[26:27], 0
	s_branch .LBB0_7
.LBB0_6:                                ;   in Loop: Header=BB0_7 Depth=1
	s_or_b32 exec_lo, exec_lo, s45
	s_add_u32 s16, s28, s16
	s_addc_u32 s17, s29, s17
	s_add_u32 s26, s26, 1
	s_addc_u32 s27, s27, 0
	s_waitcnt_vscnt null, 0x0
	s_cmp_eq_u64 s[26:27], s[10:11]
	s_barrier
	buffer_gl0_inv
	s_cbranch_scc1 .LBB0_22
.LBB0_7:                                ; =>This Loop Header: Depth=1
                                        ;     Child Loop BB0_10 Depth 2
	s_lshl_b64 s[0:1], s[26:27], 3
	s_mov_b32 s45, exec_lo
	s_add_u32 s0, s30, s0
	s_addc_u32 s1, s31, s1
	s_load_dwordx2 s[28:29], s[0:1], 0x0
	s_waitcnt lgkmcnt(0)
	v_cmpx_gt_i64_e64 s[28:29], v[0:1]
	s_cbranch_execz .LBB0_6
; %bb.8:                                ;   in Loop: Header=BB0_7 Depth=1
	s_lshl_b64 s[0:1], s[16:17], 3
	v_mov_b32_e32 v151, v1
	v_add_co_u32 v148, vcc_lo, v164, s0
	v_add_co_ci_u32_e64 v149, null, s1, v165, vcc_lo
	v_mov_b32_e32 v150, v0
	s_mov_b32 s48, 0
	s_branch .LBB0_10
.LBB0_9:                                ;   in Loop: Header=BB0_10 Depth=2
	s_or_b32 exec_lo, exec_lo, s8
	v_lshlrev_b64 v[154:155], 3, v[154:155]
	v_add_co_u32 v154, vcc_lo, s39, v154
	v_add_co_ci_u32_e64 v155, null, s42, v155, vcc_lo
	v_add_co_u32 v156, vcc_lo, s46, v156
	v_add_co_ci_u32_e64 v157, null, s47, v157, vcc_lo
	global_load_dwordx2 v[154:155], v[154:155], off
	s_clause 0x7
	global_load_dwordx4 v[158:161], v[156:157], off
	global_load_dwordx4 v[166:169], v[156:157], off offset:16
	global_load_dwordx4 v[170:173], v[156:157], off offset:32
	;; [unrolled: 1-line block ×7, first 2 shown]
	s_waitcnt vmcnt(7)
	v_fma_f64 v[142:143], v[154:155], v[158:159], v[142:143]
	v_fma_f64 v[162:163], v[154:155], v[160:161], v[144:145]
	s_waitcnt vmcnt(6)
	v_fma_f64 v[138:139], v[154:155], v[166:167], v[138:139]
	v_fma_f64 v[140:141], v[154:155], v[168:169], v[140:141]
	;; [unrolled: 3-line block ×4, first 2 shown]
	s_waitcnt vmcnt(3)
	v_fma_f64 v[116:117], v[154:155], v[180:181], v[116:117]
	s_waitcnt vmcnt(2)
	v_fma_f64 v[112:113], v[154:155], v[184:185], v[112:113]
	;; [unrolled: 2-line block ×3, first 2 shown]
	v_fma_f64 v[108:109], v[154:155], v[188:189], v[108:109]
	s_waitcnt vmcnt(0)
	v_fma_f64 v[102:103], v[154:155], v[190:191], v[102:103]
	v_fma_f64 v[104:105], v[154:155], v[192:193], v[104:105]
	v_div_scale_f64 v[130:131], null, v[142:143], v[142:143], v[162:163]
	v_div_scale_f64 v[132:133], null, v[142:143], v[142:143], v[138:139]
	v_div_scale_f64 v[144:145], null, v[142:143], v[142:143], v[140:141]
	v_div_scale_f64 v[166:167], null, v[142:143], v[142:143], v[134:135]
	v_div_scale_f64 v[168:169], null, v[142:143], v[142:143], v[136:137]
	v_div_scale_f64 v[170:171], null, v[142:143], v[142:143], v[194:195]
	v_div_scale_f64 v[172:173], null, v[142:143], v[142:143], v[196:197]
	v_div_scale_f64 v[222:223], vcc_lo, v[162:163], v[142:143], v[162:163]
	v_rcp_f64_e32 v[158:159], v[130:131]
	v_rcp_f64_e32 v[160:161], v[132:133]
	;; [unrolled: 1-line block ×7, first 2 shown]
	v_fma_f64 v[204:205], -v[130:131], v[158:159], 1.0
	v_fma_f64 v[206:207], -v[132:133], v[160:161], 1.0
	;; [unrolled: 1-line block ×7, first 2 shown]
	v_fma_f64 v[204:205], v[158:159], v[204:205], v[158:159]
	v_fma_f64 v[206:207], v[160:161], v[206:207], v[160:161]
	global_load_dwordx4 v[158:161], v[156:157], off offset:128
	v_fma_f64 v[174:175], v[174:175], v[208:209], v[174:175]
	v_fma_f64 v[176:177], v[176:177], v[210:211], v[176:177]
	;; [unrolled: 1-line block ×5, first 2 shown]
	v_fma_f64 v[208:209], -v[130:131], v[204:205], 1.0
	v_fma_f64 v[210:211], -v[132:133], v[206:207], 1.0
	;; [unrolled: 1-line block ×7, first 2 shown]
	v_fma_f64 v[204:205], v[204:205], v[208:209], v[204:205]
	v_div_scale_f64 v[208:209], s0, v[138:139], v[142:143], v[138:139]
	v_fma_f64 v[206:207], v[206:207], v[210:211], v[206:207]
	v_div_scale_f64 v[210:211], s1, v[140:141], v[142:143], v[140:141]
	;; [unrolled: 2-line block ×6, first 2 shown]
	v_fma_f64 v[202:203], v[202:203], v[220:221], v[202:203]
	v_mul_f64 v[220:221], v[222:223], v[204:205]
	v_mul_f64 v[224:225], v[208:209], v[206:207]
	;; [unrolled: 1-line block ×7, first 2 shown]
	v_fma_f64 v[130:131], -v[130:131], v[220:221], v[222:223]
	v_fma_f64 v[132:133], -v[132:133], v[224:225], v[208:209]
	;; [unrolled: 1-line block ×5, first 2 shown]
	global_load_dwordx4 v[166:169], v[156:157], off offset:144
	v_fma_f64 v[216:217], -v[170:171], v[232:233], v[216:217]
	v_fma_f64 v[218:219], -v[172:173], v[234:235], v[218:219]
	s_clause 0x1
	global_load_dwordx4 v[170:173], v[156:157], off offset:176
	global_load_dwordx4 v[174:177], v[156:157], off offset:160
	v_div_fmas_f64 v[130:131], v[130:131], v[204:205], v[220:221]
	s_mov_b32 vcc_lo, s0
	v_div_fmas_f64 v[132:133], v[132:133], v[206:207], v[224:225]
	s_mov_b32 vcc_lo, s1
	;; [unrolled: 2-line block ×3, first 2 shown]
	v_fma_f64 v[144:145], v[154:155], v[178:179], v[114:115]
	v_div_fmas_f64 v[206:207], v[208:209], v[214:215], v[228:229]
	s_mov_b32 vcc_lo, s3
	v_div_fmas_f64 v[198:199], v[210:211], v[198:199], v[230:231]
	s_mov_b32 vcc_lo, s4
	;; [unrolled: 2-line block ×3, first 2 shown]
	v_div_fmas_f64 v[202:203], v[218:219], v[202:203], v[234:235]
	v_div_fixup_f64 v[114:115], v[130:131], v[142:143], v[162:163]
	v_fma_f64 v[162:163], v[154:155], v[182:183], v[110:111]
	v_div_fixup_f64 v[130:131], v[132:133], v[142:143], v[138:139]
	v_div_fixup_f64 v[132:133], v[204:205], v[142:143], v[140:141]
	;; [unrolled: 1-line block ×6, first 2 shown]
	v_fma_f64 v[110:111], v[114:115], v[144:145], 0
	v_fma_f64 v[178:179], v[130:131], v[144:145], 0
	;; [unrolled: 1-line block ×7, first 2 shown]
	v_add_f64 v[110:111], v[116:117], -v[110:111]
	v_add_f64 v[162:163], v[162:163], -v[178:179]
	;; [unrolled: 1-line block ×3, first 2 shown]
	global_load_dwordx4 v[178:181], v[156:157], off offset:192
	v_add_f64 v[106:107], v[106:107], -v[182:183]
	v_add_f64 v[108:109], v[108:109], -v[184:185]
	;; [unrolled: 1-line block ×4, first 2 shown]
	v_div_scale_f64 v[102:103], null, v[110:111], v[110:111], v[162:163]
	v_div_scale_f64 v[220:221], vcc_lo, v[162:163], v[110:111], v[162:163]
	v_div_scale_f64 v[104:105], null, v[110:111], v[110:111], v[194:195]
	v_div_scale_f64 v[116:117], null, v[110:111], v[110:111], v[106:107]
	v_div_scale_f64 v[222:223], s0, v[194:195], v[110:111], v[194:195]
	v_div_scale_f64 v[186:187], null, v[110:111], v[110:111], v[108:109]
	v_div_scale_f64 v[188:189], null, v[110:111], v[110:111], v[196:197]
	;; [unrolled: 1-line block ×3, first 2 shown]
	v_rcp_f64_e32 v[112:113], v[102:103]
	v_rcp_f64_e32 v[182:183], v[104:105]
	;; [unrolled: 1-line block ×6, first 2 shown]
	v_fma_f64 v[204:205], -v[102:103], v[112:113], 1.0
	v_fma_f64 v[206:207], -v[104:105], v[182:183], 1.0
	;; [unrolled: 1-line block ×6, first 2 shown]
	v_fma_f64 v[112:113], v[112:113], v[204:205], v[112:113]
	v_fma_f64 v[204:205], v[182:183], v[206:207], v[182:183]
	;; [unrolled: 1-line block ×3, first 2 shown]
	global_load_dwordx4 v[182:185], v[156:157], off offset:208
	v_fma_f64 v[192:193], v[192:193], v[210:211], v[192:193]
	v_fma_f64 v[200:201], v[200:201], v[212:213], v[200:201]
	;; [unrolled: 1-line block ×3, first 2 shown]
	v_fma_f64 v[208:209], -v[102:103], v[112:113], 1.0
	v_fma_f64 v[210:211], -v[104:105], v[204:205], 1.0
	;; [unrolled: 1-line block ×6, first 2 shown]
	v_fma_f64 v[208:209], v[112:113], v[208:209], v[112:113]
	v_fma_f64 v[204:205], v[204:205], v[210:211], v[204:205]
	v_div_scale_f64 v[210:211], s1, v[106:107], v[110:111], v[106:107]
	v_fma_f64 v[206:207], v[206:207], v[212:213], v[206:207]
	v_div_scale_f64 v[212:213], s2, v[108:109], v[110:111], v[108:109]
	;; [unrolled: 2-line block ×4, first 2 shown]
	v_fma_f64 v[202:203], v[202:203], v[218:219], v[202:203]
	s_waitcnt vmcnt(5)
	v_fma_f64 v[112:113], v[154:155], v[158:159], v[94:95]
	v_fma_f64 v[96:97], v[154:155], v[160:161], v[96:97]
	v_mul_f64 v[218:219], v[220:221], v[208:209]
	v_mul_f64 v[224:225], v[222:223], v[204:205]
	;; [unrolled: 1-line block ×6, first 2 shown]
	v_fma_f64 v[160:161], v[114:115], v[112:113], 0
	v_fma_f64 v[94:95], -v[102:103], v[218:219], v[220:221]
	v_fma_f64 v[102:103], -v[104:105], v[224:225], v[222:223]
	;; [unrolled: 1-line block ×6, first 2 shown]
	s_clause 0x1
	global_load_dwordx4 v[186:189], v[156:157], off offset:224
	global_load_dwordx4 v[190:193], v[156:157], off offset:240
	v_div_fmas_f64 v[94:95], v[94:95], v[208:209], v[218:219]
	s_mov_b32 vcc_lo, s0
	v_div_fmas_f64 v[102:103], v[102:103], v[204:205], v[224:225]
	s_mov_b32 vcc_lo, s1
	;; [unrolled: 2-line block ×3, first 2 shown]
	v_fma_f64 v[206:207], v[132:133], v[112:113], 0
	v_div_fmas_f64 v[204:205], v[116:117], v[214:215], v[228:229]
	s_mov_b32 vcc_lo, s3
	v_add_f64 v[116:117], v[96:97], -v[160:161]
	v_div_fmas_f64 v[158:159], v[158:159], v[200:201], v[230:231]
	s_mov_b32 vcc_lo, s4
	v_fma_f64 v[160:161], v[134:135], v[112:113], 0
	v_div_fmas_f64 v[200:201], v[210:211], v[202:203], v[232:233]
	v_fma_f64 v[202:203], v[130:131], v[112:113], 0
	v_div_fixup_f64 v[94:95], v[94:95], v[110:111], v[162:163]
	v_fma_f64 v[162:163], v[136:137], v[112:113], 0
	v_div_fixup_f64 v[96:97], v[102:103], v[110:111], v[194:195]
	;; [unrolled: 2-line block ×3, first 2 shown]
	v_div_fixup_f64 v[104:105], v[204:205], v[110:111], v[108:109]
	v_div_fixup_f64 v[106:107], v[158:159], v[110:111], v[196:197]
	v_fma_f64 v[158:159], v[140:141], v[112:113], 0
	v_div_fixup_f64 v[108:109], v[200:201], v[110:111], v[198:199]
	s_waitcnt vmcnt(6)
	v_fma_f64 v[90:91], v[154:155], v[166:167], v[90:91]
	v_fma_f64 v[92:93], v[154:155], v[168:169], v[92:93]
	;; [unrolled: 1-line block ×3, first 2 shown]
	s_waitcnt vmcnt(5)
	v_fma_f64 v[82:83], v[154:155], v[170:171], v[82:83]
	v_fma_f64 v[168:169], v[96:97], v[116:117], v[206:207]
	s_waitcnt vmcnt(4)
	v_fma_f64 v[174:175], v[154:155], v[174:175], v[86:87]
	v_fma_f64 v[88:89], v[154:155], v[176:177], v[88:89]
	;; [unrolled: 1-line block ×7, first 2 shown]
	v_add_f64 v[86:87], v[90:91], -v[166:167]
	v_add_f64 v[92:93], v[92:93], -v[168:169]
	;; [unrolled: 1-line block ×6, first 2 shown]
	global_load_dwordx4 v[158:161], v[156:157], off offset:256
	v_div_scale_f64 v[170:171], null, v[86:87], v[86:87], v[92:93]
	v_div_scale_f64 v[172:173], null, v[86:87], v[86:87], v[194:195]
	;; [unrolled: 1-line block ×5, first 2 shown]
	v_rcp_f64_e32 v[88:89], v[170:171]
	v_rcp_f64_e32 v[90:91], v[172:173]
	v_rcp_f64_e32 v[166:167], v[174:175]
	v_rcp_f64_e32 v[168:169], v[176:177]
	s_waitcnt vmcnt(4)
	v_fma_f64 v[80:81], v[154:155], v[180:181], v[80:81]
	v_rcp_f64_e32 v[198:199], v[196:197]
	v_fma_f64 v[200:201], -v[170:171], v[88:89], 1.0
	v_fma_f64 v[202:203], -v[172:173], v[90:91], 1.0
	;; [unrolled: 1-line block ×5, first 2 shown]
	v_fma_f64 v[200:201], v[88:89], v[200:201], v[88:89]
	v_fma_f64 v[88:89], v[154:155], v[178:179], v[78:79]
	v_div_scale_f64 v[78:79], vcc_lo, v[92:93], v[86:87], v[92:93]
	v_fma_f64 v[90:91], v[90:91], v[202:203], v[90:91]
	v_fma_f64 v[202:203], v[166:167], v[204:205], v[166:167]
	;; [unrolled: 1-line block ×3, first 2 shown]
	global_load_dwordx4 v[166:169], v[156:157], off offset:272
	v_fma_f64 v[198:199], v[198:199], v[208:209], v[198:199]
	v_fma_f64 v[206:207], -v[170:171], v[200:201], 1.0
	v_fma_f64 v[222:223], v[130:131], v[88:89], 0
	v_fma_f64 v[224:225], v[138:139], v[88:89], 0
	;; [unrolled: 1-line block ×3, first 2 shown]
	v_fma_f64 v[208:209], -v[172:173], v[90:91], 1.0
	v_fma_f64 v[210:211], -v[174:175], v[202:203], 1.0
	;; [unrolled: 1-line block ×4, first 2 shown]
	v_fma_f64 v[178:179], v[200:201], v[206:207], v[200:201]
	v_div_scale_f64 v[200:201], s0, v[194:195], v[86:87], v[194:195]
	v_fma_f64 v[206:207], v[90:91], v[208:209], v[90:91]
	v_div_scale_f64 v[208:209], s1, v[162:163], v[86:87], v[162:163]
	;; [unrolled: 2-line block ×4, first 2 shown]
	v_fma_f64 v[198:199], v[198:199], v[214:215], v[198:199]
	v_fma_f64 v[90:91], v[114:115], v[88:89], 0
	s_waitcnt vmcnt(4)
	v_fma_f64 v[74:75], v[154:155], v[182:183], v[74:75]
	v_fma_f64 v[182:183], v[132:133], v[88:89], 0
	;; [unrolled: 1-line block ×3, first 2 shown]
	v_mul_f64 v[180:181], v[78:79], v[178:179]
	v_mul_f64 v[214:215], v[200:201], v[206:207]
	;; [unrolled: 1-line block ×5, first 2 shown]
	v_add_f64 v[90:91], v[80:81], -v[90:91]
	v_fma_f64 v[78:79], -v[170:171], v[180:181], v[78:79]
	v_fma_f64 v[80:81], -v[172:173], v[214:215], v[200:201]
	;; [unrolled: 1-line block ×4, first 2 shown]
	s_clause 0x1
	global_load_dwordx4 v[170:173], v[156:157], off offset:304
	global_load_dwordx4 v[174:177], v[156:157], off offset:288
	v_fma_f64 v[210:211], v[134:135], v[88:89], 0
	v_fma_f64 v[196:197], -v[196:197], v[220:221], v[212:213]
	v_fma_f64 v[222:223], v[94:95], v[90:91], v[222:223]
	v_fma_f64 v[212:213], v[136:137], v[88:89], 0
	;; [unrolled: 1-line block ×3, first 2 shown]
	v_div_fmas_f64 v[78:79], v[78:79], v[178:179], v[180:181]
	s_mov_b32 vcc_lo, s0
	v_div_fmas_f64 v[80:81], v[80:81], v[206:207], v[214:215]
	s_mov_b32 vcc_lo, s1
	;; [unrolled: 2-line block ×4, first 2 shown]
	v_div_fmas_f64 v[196:197], v[196:197], v[198:199], v[220:221]
	v_fma_f64 v[198:199], v[102:103], v[90:91], v[210:211]
	v_add_f64 v[200:201], v[74:75], -v[222:223]
	v_div_fixup_f64 v[74:75], v[78:79], v[86:87], v[92:93]
	v_fma_f64 v[92:93], v[104:105], v[90:91], v[212:213]
	v_div_fixup_f64 v[78:79], v[80:81], v[86:87], v[194:195]
	v_div_fixup_f64 v[80:81], v[178:179], v[86:87], v[162:163]
	v_fma_f64 v[162:163], v[106:107], v[90:91], v[224:225]
	v_fma_f64 v[178:179], v[108:109], v[90:91], v[226:227]
	v_div_fixup_f64 v[82:83], v[180:181], v[86:87], v[82:83]
	v_div_fixup_f64 v[84:85], v[196:197], v[86:87], v[84:85]
	s_waitcnt vmcnt(5)
	v_fma_f64 v[70:71], v[154:155], v[186:187], v[70:71]
	v_fma_f64 v[180:181], v[74:75], v[200:201], v[182:183]
	v_fma_f64 v[72:73], v[154:155], v[188:189], v[72:73]
	s_waitcnt vmcnt(4)
	v_fma_f64 v[184:185], v[154:155], v[190:191], v[66:67]
	v_fma_f64 v[182:183], v[78:79], v[200:201], v[198:199]
	;; [unrolled: 1-line block ×3, first 2 shown]
	global_load_dwordx4 v[66:69], v[156:157], off offset:320
	v_fma_f64 v[92:93], v[80:81], v[200:201], v[92:93]
	v_fma_f64 v[162:163], v[82:83], v[200:201], v[162:163]
	;; [unrolled: 1-line block ×3, first 2 shown]
	v_add_f64 v[76:77], v[76:77], -v[180:181]
	v_add_f64 v[180:181], v[70:71], -v[182:183]
	;; [unrolled: 1-line block ×3, first 2 shown]
	global_load_dwordx4 v[70:73], v[156:157], off offset:336
	v_add_f64 v[162:163], v[184:185], -v[162:163]
	v_add_f64 v[178:179], v[186:187], -v[178:179]
	v_div_scale_f64 v[182:183], null, v[76:77], v[76:77], v[180:181]
	v_div_scale_f64 v[184:185], null, v[76:77], v[76:77], v[92:93]
	;; [unrolled: 1-line block ×4, first 2 shown]
	v_rcp_f64_e32 v[190:191], v[182:183]
	v_rcp_f64_e32 v[192:193], v[184:185]
	;; [unrolled: 1-line block ×4, first 2 shown]
	s_waitcnt vmcnt(5)
	v_fma_f64 v[208:209], v[154:155], v[158:159], v[62:63]
	v_fma_f64 v[160:161], v[154:155], v[160:161], v[64:65]
	global_load_dwordx4 v[62:65], v[156:157], off offset:352
	v_fma_f64 v[198:199], -v[182:183], v[190:191], 1.0
	v_fma_f64 v[202:203], -v[184:185], v[192:193], 1.0
	;; [unrolled: 1-line block ×4, first 2 shown]
	v_fma_f64 v[210:211], v[130:131], v[208:209], 0
	v_fma_f64 v[218:219], v[134:135], v[208:209], 0
	;; [unrolled: 1-line block ×10, first 2 shown]
	v_fma_f64 v[198:199], -v[182:183], v[158:159], 1.0
	v_fma_f64 v[202:203], -v[184:185], v[190:191], 1.0
	;; [unrolled: 1-line block ×4, first 2 shown]
	v_add_f64 v[196:197], v[160:161], -v[196:197]
	v_div_scale_f64 v[160:161], vcc_lo, v[180:181], v[76:77], v[180:181]
	v_fma_f64 v[198:199], v[158:159], v[198:199], v[158:159]
	v_div_scale_f64 v[158:159], s0, v[92:93], v[76:77], v[92:93]
	v_fma_f64 v[190:191], v[190:191], v[202:203], v[190:191]
	v_div_scale_f64 v[202:203], s1, v[162:163], v[76:77], v[162:163]
	;; [unrolled: 2-line block ×3, first 2 shown]
	v_fma_f64 v[194:195], v[194:195], v[206:207], v[194:195]
	v_fma_f64 v[206:207], v[94:95], v[196:197], v[210:211]
	s_waitcnt vmcnt(5)
	v_fma_f64 v[58:59], v[154:155], v[166:167], v[58:59]
	v_fma_f64 v[166:167], v[132:133], v[208:209], 0
	;; [unrolled: 1-line block ×3, first 2 shown]
	v_mul_f64 v[210:211], v[160:161], v[198:199]
	v_mul_f64 v[212:213], v[158:159], v[190:191]
	;; [unrolled: 1-line block ×4, first 2 shown]
	v_add_f64 v[206:207], v[58:59], -v[206:207]
	v_fma_f64 v[166:167], v[96:97], v[196:197], v[166:167]
	v_fma_f64 v[58:59], -v[182:183], v[210:211], v[160:161]
	v_fma_f64 v[182:183], -v[184:185], v[212:213], v[158:159]
	global_load_dwordx4 v[158:161], v[156:157], off offset:368
	v_fma_f64 v[184:185], -v[186:187], v[214:215], v[202:203]
	v_fma_f64 v[202:203], v[104:105], v[196:197], v[220:221]
	v_fma_f64 v[186:187], -v[188:189], v[216:217], v[204:205]
	v_fma_f64 v[188:189], v[102:103], v[196:197], v[218:219]
	v_fma_f64 v[204:205], v[106:107], v[196:197], v[222:223]
	;; [unrolled: 1-line block ×4, first 2 shown]
	v_div_fmas_f64 v[198:199], v[58:59], v[198:199], v[210:211]
	s_mov_b32 vcc_lo, s0
	global_load_dwordx4 v[58:61], v[156:157], off offset:384
	v_div_fmas_f64 v[182:183], v[182:183], v[190:191], v[212:213]
	s_mov_b32 vcc_lo, s1
	v_div_fmas_f64 v[184:185], v[184:185], v[192:193], v[214:215]
	s_mov_b32 vcc_lo, s2
	v_fma_f64 v[190:191], v[80:81], v[206:207], v[202:203]
	v_div_fmas_f64 v[186:187], v[186:187], v[194:195], v[216:217]
	v_fma_f64 v[188:189], v[78:79], v[206:207], v[188:189]
	v_add_f64 v[166:167], v[168:169], -v[166:167]
	v_div_fixup_f64 v[168:169], v[198:199], v[76:77], v[180:181]
	v_fma_f64 v[180:181], v[82:83], v[206:207], v[204:205]
	v_div_fixup_f64 v[92:93], v[182:183], v[76:77], v[92:93]
	v_fma_f64 v[182:183], v[84:85], v[206:207], v[218:219]
	v_div_fixup_f64 v[162:163], v[184:185], v[76:77], v[162:163]
	v_div_fixup_f64 v[178:179], v[186:187], v[76:77], v[178:179]
	s_waitcnt vmcnt(6)
	v_fma_f64 v[50:51], v[154:155], v[170:171], v[50:51]
	s_waitcnt vmcnt(5)
	v_fma_f64 v[54:55], v[154:155], v[174:175], v[54:55]
	v_fma_f64 v[56:57], v[154:155], v[176:177], v[56:57]
	;; [unrolled: 1-line block ×7, first 2 shown]
	v_add_f64 v[54:55], v[54:55], -v[174:175]
	v_add_f64 v[56:57], v[56:57], -v[176:177]
	;; [unrolled: 1-line block ×4, first 2 shown]
	global_load_dwordx4 v[50:53], v[156:157], off offset:400
	v_div_scale_f64 v[174:175], null, v[54:55], v[54:55], v[56:57]
	v_div_scale_f64 v[176:177], null, v[54:55], v[54:55], v[170:171]
	;; [unrolled: 1-line block ×3, first 2 shown]
	s_waitcnt vmcnt(5)
	v_fma_f64 v[66:67], v[154:155], v[66:67], v[46:47]
	v_fma_f64 v[48:49], v[154:155], v[68:69], v[48:49]
	v_rcp_f64_e32 v[46:47], v[174:175]
	v_rcp_f64_e32 v[182:183], v[176:177]
	;; [unrolled: 1-line block ×3, first 2 shown]
	v_fma_f64 v[68:69], v[114:115], v[66:67], 0
	v_fma_f64 v[192:193], v[130:131], v[66:67], 0
	s_waitcnt vmcnt(4)
	v_fma_f64 v[42:43], v[154:155], v[70:71], v[42:43]
	v_fma_f64 v[70:71], v[132:133], v[66:67], 0
	;; [unrolled: 1-line block ×6, first 2 shown]
	v_fma_f64 v[186:187], -v[174:175], v[46:47], 1.0
	v_fma_f64 v[188:189], -v[176:177], v[182:183], 1.0
	;; [unrolled: 1-line block ×3, first 2 shown]
	v_add_f64 v[68:69], v[48:49], -v[68:69]
	v_fma_f64 v[186:187], v[46:47], v[186:187], v[46:47]
	global_load_dwordx4 v[46:49], v[156:157], off offset:416
	v_fma_f64 v[182:183], v[182:183], v[188:189], v[182:183]
	v_fma_f64 v[184:185], v[184:185], v[190:191], v[184:185]
	;; [unrolled: 1-line block ×7, first 2 shown]
	v_fma_f64 v[190:191], -v[174:175], v[186:187], 1.0
	v_fma_f64 v[192:193], -v[176:177], v[182:183], 1.0
	s_waitcnt vmcnt(4)
	v_fma_f64 v[38:39], v[154:155], v[62:63], v[38:39]
	v_fma_f64 v[40:41], v[154:155], v[64:65], v[40:41]
	v_fma_f64 v[194:195], -v[180:181], v[184:185], 1.0
	v_add_f64 v[188:189], v[42:43], -v[188:189]
	v_div_scale_f64 v[42:43], vcc_lo, v[56:57], v[54:55], v[56:57]
	v_fma_f64 v[186:187], v[186:187], v[190:191], v[186:187]
	v_div_scale_f64 v[190:191], s0, v[170:171], v[54:55], v[170:171]
	v_fma_f64 v[182:183], v[182:183], v[192:193], v[182:183]
	v_div_scale_f64 v[192:193], s1, v[172:173], v[54:55], v[172:173]
	v_fma_f64 v[184:185], v[184:185], v[194:195], v[184:185]
	v_fma_f64 v[194:195], v[138:139], v[66:67], 0
	;; [unrolled: 1-line block ×5, first 2 shown]
	v_mul_f64 v[204:205], v[42:43], v[186:187]
	v_mul_f64 v[210:211], v[190:191], v[182:183]
	;; [unrolled: 1-line block ×3, first 2 shown]
	v_fma_f64 v[194:195], v[106:107], v[68:69], v[194:195]
	v_add_f64 v[70:71], v[44:45], -v[70:71]
	v_fma_f64 v[174:175], -v[174:175], v[204:205], v[42:43]
	global_load_dwordx4 v[42:45], v[156:157], off offset:432
	v_fma_f64 v[176:177], -v[176:177], v[210:211], v[190:191]
	v_fma_f64 v[190:191], v[84:85], v[188:189], v[202:203]
	v_fma_f64 v[180:181], -v[180:181], v[212:213], v[192:193]
	v_fma_f64 v[72:73], v[82:83], v[188:189], v[194:195]
	v_fma_f64 v[192:193], v[168:169], v[70:71], v[198:199]
	;; [unrolled: 1-line block ×3, first 2 shown]
	v_div_fmas_f64 v[174:175], v[174:175], v[186:187], v[204:205]
	s_mov_b32 vcc_lo, s0
	v_div_fmas_f64 v[176:177], v[176:177], v[182:183], v[210:211]
	s_mov_b32 vcc_lo, s1
	v_div_fmas_f64 v[180:181], v[180:181], v[184:185], v[212:213]
	v_fma_f64 v[72:73], v[162:163], v[70:71], v[72:73]
	v_add_f64 v[38:39], v[38:39], -v[192:193]
	v_div_fixup_f64 v[56:57], v[174:175], v[54:55], v[56:57]
	v_fma_f64 v[174:175], v[178:179], v[70:71], v[190:191]
	v_div_fixup_f64 v[170:171], v[176:177], v[54:55], v[170:171]
	v_div_fixup_f64 v[172:173], v[180:181], v[54:55], v[172:173]
	s_waitcnt vmcnt(4)
	v_fma_f64 v[30:31], v[154:155], v[158:159], v[30:31]
	v_fma_f64 v[32:33], v[154:155], v[160:161], v[32:33]
	;; [unrolled: 1-line block ×5, first 2 shown]
	s_waitcnt vmcnt(3)
	v_fma_f64 v[34:35], v[154:155], v[58:59], v[34:35]
	v_fma_f64 v[36:37], v[154:155], v[60:61], v[36:37]
	v_add_f64 v[40:41], v[40:41], -v[62:63]
	v_add_f64 v[30:31], v[30:31], -v[64:65]
	;; [unrolled: 1-line block ×3, first 2 shown]
	v_fma_f64 v[58:59], v[114:115], v[34:35], 0
	v_fma_f64 v[64:65], v[130:131], v[34:35], 0
	;; [unrolled: 1-line block ×4, first 2 shown]
	v_div_scale_f64 v[60:61], null, v[40:41], v[40:41], v[30:31]
	v_div_scale_f64 v[62:63], null, v[40:41], v[40:41], v[32:33]
	v_add_f64 v[36:37], v[36:37], -v[58:59]
	v_rcp_f64_e32 v[58:59], v[60:61]
	v_rcp_f64_e32 v[72:73], v[62:63]
	v_fma_f64 v[64:65], v[94:95], v[36:37], v[64:65]
	s_waitcnt vmcnt(2)
	v_fma_f64 v[26:27], v[154:155], v[50:51], v[26:27]
	v_fma_f64 v[50:51], v[132:133], v[34:35], 0
	;; [unrolled: 1-line block ×4, first 2 shown]
	v_fma_f64 v[158:159], -v[60:61], v[58:59], 1.0
	v_fma_f64 v[160:161], -v[62:63], v[72:73], 1.0
	v_add_f64 v[64:65], v[26:27], -v[64:65]
	v_fma_f64 v[50:51], v[96:97], v[36:37], v[50:51]
	v_fma_f64 v[52:53], v[104:105], v[36:37], v[52:53]
	v_fma_f64 v[26:27], v[58:59], v[158:159], v[58:59]
	v_fma_f64 v[58:59], v[72:73], v[160:161], v[72:73]
	v_fma_f64 v[72:73], v[102:103], v[36:37], v[174:175]
	v_fma_f64 v[174:175], v[138:139], v[34:35], 0
	v_fma_f64 v[50:51], v[74:75], v[64:65], v[50:51]
	v_fma_f64 v[52:53], v[80:81], v[64:65], v[52:53]
	v_fma_f64 v[158:159], -v[60:61], v[26:27], 1.0
	v_fma_f64 v[160:161], -v[62:63], v[58:59], 1.0
	v_fma_f64 v[72:73], v[78:79], v[64:65], v[72:73]
	v_add_f64 v[50:51], v[28:29], -v[50:51]
	v_div_scale_f64 v[28:29], vcc_lo, v[30:31], v[40:41], v[30:31]
	v_fma_f64 v[26:27], v[26:27], v[158:159], v[26:27]
	v_div_scale_f64 v[158:159], s0, v[32:33], v[40:41], v[32:33]
	v_fma_f64 v[58:59], v[58:59], v[160:161], v[58:59]
	v_fma_f64 v[160:161], v[108:109], v[36:37], v[176:177]
	s_waitcnt vmcnt(1)
	v_fma_f64 v[22:23], v[154:155], v[46:47], v[22:23]
	v_fma_f64 v[46:47], v[106:107], v[36:37], v[174:175]
	v_fma_f64 v[24:25], v[154:155], v[48:49], v[24:25]
	v_fma_f64 v[72:73], v[168:169], v[50:51], v[72:73]
	v_fma_f64 v[52:53], v[92:93], v[50:51], v[52:53]
	v_mul_f64 v[174:175], v[28:29], v[26:27]
	v_mul_f64 v[176:177], v[158:159], v[58:59]
	v_fma_f64 v[160:161], v[84:85], v[64:65], v[160:161]
	v_fma_f64 v[46:47], v[82:83], v[64:65], v[46:47]
	v_add_f64 v[72:73], v[22:23], -v[72:73]
	v_fma_f64 v[22:23], -v[60:61], v[174:175], v[28:29]
	v_fma_f64 v[28:29], -v[62:63], v[176:177], v[158:159]
	v_fma_f64 v[48:49], v[178:179], v[50:51], v[160:161]
	v_fma_f64 v[46:47], v[162:163], v[50:51], v[46:47]
	;; [unrolled: 1-line block ×3, first 2 shown]
	v_div_fmas_f64 v[22:23], v[22:23], v[26:27], v[174:175]
	s_mov_b32 vcc_lo, s0
	v_div_fmas_f64 v[26:27], v[28:29], v[58:59], v[176:177]
	v_fma_f64 v[28:29], v[170:171], v[72:73], v[46:47]
	v_fma_f64 v[46:47], v[172:173], v[72:73], v[48:49]
	v_add_f64 v[48:49], v[24:25], -v[52:53]
	v_div_fixup_f64 v[52:53], v[22:23], v[40:41], v[30:31]
	v_div_fixup_f64 v[58:59], v[26:27], v[40:41], v[32:33]
	s_waitcnt vmcnt(0)
	v_fma_f64 v[18:19], v[154:155], v[42:43], v[18:19]
	v_fma_f64 v[20:21], v[154:155], v[44:45], v[20:21]
	;; [unrolled: 1-line block ×4, first 2 shown]
	v_add_f64 v[42:43], v[18:19], -v[22:23]
	v_add_f64 v[44:45], v[20:21], -v[24:25]
	v_div_scale_f64 v[20:21], null, v[142:143], v[142:143], v[126:127]
	v_div_scale_f64 v[18:19], null, v[42:43], v[42:43], v[44:45]
	v_rcp_f64_e32 v[24:25], v[20:21]
	v_div_scale_f64 v[30:31], vcc_lo, v[44:45], v[42:43], v[44:45]
	v_rcp_f64_e32 v[22:23], v[18:19]
	v_fma_f64 v[28:29], -v[20:21], v[24:25], 1.0
	v_fma_f64 v[26:27], -v[18:19], v[22:23], 1.0
	v_fma_f64 v[24:25], v[24:25], v[28:29], v[24:25]
	v_fma_f64 v[22:23], v[22:23], v[26:27], v[22:23]
	v_fma_f64 v[28:29], -v[20:21], v[24:25], 1.0
	v_fma_f64 v[26:27], -v[18:19], v[22:23], 1.0
	v_fma_f64 v[24:25], v[24:25], v[28:29], v[24:25]
	v_fma_f64 v[22:23], v[22:23], v[26:27], v[22:23]
	v_div_scale_f64 v[26:27], s0, v[126:127], v[142:143], v[126:127]
	v_mul_f64 v[28:29], v[30:31], v[22:23]
	v_mul_f64 v[32:33], v[26:27], v[24:25]
	v_fma_f64 v[18:19], -v[18:19], v[28:29], v[30:31]
	v_fma_f64 v[20:21], -v[20:21], v[32:33], v[26:27]
	v_div_fmas_f64 v[46:47], v[18:19], v[22:23], v[28:29]
	s_mov_b32 vcc_lo, s0
	v_add_co_u32 v148, s0, 0x200, v148
	v_div_fmas_f64 v[18:19], v[20:21], v[24:25], v[32:33]
	v_add_co_ci_u32_e64 v149, null, 0, v149, s0
	v_div_fixup_f64 v[60:61], v[18:19], v[142:143], v[126:127]
	v_fma_f64 v[18:19], v[144:145], v[60:61], 0
	v_fma_f64 v[28:29], v[208:209], v[60:61], 0
	;; [unrolled: 1-line block ×4, first 2 shown]
	v_add_f64 v[18:19], v[128:129], -v[18:19]
	v_div_scale_f64 v[20:21], null, v[110:111], v[110:111], v[18:19]
	v_div_scale_f64 v[26:27], vcc_lo, v[18:19], v[110:111], v[18:19]
	v_rcp_f64_e32 v[22:23], v[20:21]
	v_fma_f64 v[24:25], -v[20:21], v[22:23], 1.0
	v_fma_f64 v[22:23], v[22:23], v[24:25], v[22:23]
	v_fma_f64 v[24:25], -v[20:21], v[22:23], 1.0
	v_fma_f64 v[22:23], v[22:23], v[24:25], v[22:23]
	v_mul_f64 v[24:25], v[26:27], v[22:23]
	v_fma_f64 v[20:21], -v[20:21], v[24:25], v[26:27]
	v_div_fmas_f64 v[20:21], v[20:21], v[22:23], v[24:25]
	v_fma_f64 v[22:23], v[112:113], v[60:61], 0
	v_div_fixup_f64 v[62:63], v[20:21], v[110:111], v[18:19]
	v_fma_f64 v[18:19], v[116:117], v[62:63], v[22:23]
	v_fma_f64 v[30:31], v[68:69], v[62:63], v[30:31]
	;; [unrolled: 1-line block ×3, first 2 shown]
	v_add_f64 v[18:19], v[122:123], -v[18:19]
	v_div_scale_f64 v[20:21], null, v[86:87], v[86:87], v[18:19]
	v_div_scale_f64 v[26:27], vcc_lo, v[18:19], v[86:87], v[18:19]
	v_rcp_f64_e32 v[22:23], v[20:21]
	v_fma_f64 v[24:25], -v[20:21], v[22:23], 1.0
	v_fma_f64 v[22:23], v[22:23], v[24:25], v[22:23]
	v_fma_f64 v[24:25], -v[20:21], v[22:23], 1.0
	v_fma_f64 v[22:23], v[22:23], v[24:25], v[22:23]
	v_mul_f64 v[24:25], v[26:27], v[22:23]
	v_fma_f64 v[20:21], -v[20:21], v[24:25], v[26:27]
	v_fma_f64 v[26:27], v[88:89], v[60:61], 0
	v_div_fmas_f64 v[20:21], v[20:21], v[22:23], v[24:25]
	v_fma_f64 v[22:23], v[90:91], v[62:63], v[26:27]
	v_div_fixup_f64 v[86:87], v[20:21], v[86:87], v[18:19]
	v_fma_f64 v[18:19], v[200:201], v[86:87], v[22:23]
	v_fma_f64 v[34:35], v[64:65], v[86:87], v[34:35]
	v_add_f64 v[18:19], v[124:125], -v[18:19]
	v_div_scale_f64 v[20:21], null, v[76:77], v[76:77], v[18:19]
	v_div_scale_f64 v[26:27], vcc_lo, v[18:19], v[76:77], v[18:19]
	v_rcp_f64_e32 v[22:23], v[20:21]
	v_fma_f64 v[24:25], -v[20:21], v[22:23], 1.0
	v_fma_f64 v[22:23], v[22:23], v[24:25], v[22:23]
	v_fma_f64 v[24:25], -v[20:21], v[22:23], 1.0
	v_fma_f64 v[22:23], v[22:23], v[24:25], v[22:23]
	v_mul_f64 v[24:25], v[26:27], v[22:23]
	v_fma_f64 v[20:21], -v[20:21], v[24:25], v[26:27]
	v_fma_f64 v[26:27], v[196:197], v[62:63], v[28:29]
	v_div_fmas_f64 v[20:21], v[20:21], v[22:23], v[24:25]
	v_fma_f64 v[22:23], v[206:207], v[86:87], v[26:27]
	v_div_fixup_f64 v[76:77], v[20:21], v[76:77], v[18:19]
	v_fma_f64 v[18:19], v[166:167], v[76:77], v[22:23]
	v_fma_f64 v[34:35], v[50:51], v[76:77], v[34:35]
	v_add_f64 v[22:23], v[118:119], -v[18:19]
	v_div_scale_f64 v[24:25], null, v[54:55], v[54:55], v[22:23]
	v_div_scale_f64 v[26:27], vcc_lo, v[22:23], v[54:55], v[22:23]
	v_rcp_f64_e32 v[18:19], v[24:25]
	v_fma_f64 v[20:21], -v[24:25], v[18:19], 1.0
	v_fma_f64 v[18:19], v[18:19], v[20:21], v[18:19]
	v_fma_f64 v[20:21], -v[24:25], v[18:19], 1.0
	v_fma_f64 v[28:29], v[18:19], v[20:21], v[18:19]
	global_load_dwordx4 v[18:21], v[156:157], off offset:448
	v_mul_f64 v[32:33], v[26:27], v[28:29]
	v_fma_f64 v[24:25], -v[24:25], v[32:33], v[26:27]
	v_fma_f64 v[26:27], v[188:189], v[86:87], v[30:31]
	v_div_fmas_f64 v[24:25], v[24:25], v[28:29], v[32:33]
	v_fma_f64 v[26:27], v[70:71], v[76:77], v[26:27]
	v_div_fixup_f64 v[54:55], v[24:25], v[54:55], v[22:23]
	global_load_dwordx4 v[22:25], v[156:157], off offset:464
	v_fma_f64 v[26:27], v[38:39], v[54:55], v[26:27]
	v_add_f64 v[38:39], v[120:121], -v[26:27]
	global_load_dwordx4 v[26:29], v[156:157], off offset:480
	v_div_scale_f64 v[66:67], null, v[40:41], v[40:41], v[38:39]
	v_div_scale_f64 v[68:69], vcc_lo, v[38:39], v[40:41], v[38:39]
	v_rcp_f64_e32 v[30:31], v[66:67]
	v_fma_f64 v[32:33], -v[66:67], v[30:31], 1.0
	v_fma_f64 v[30:31], v[30:31], v[32:33], v[30:31]
	v_fma_f64 v[32:33], -v[66:67], v[30:31], 1.0
	v_fma_f64 v[70:71], v[30:31], v[32:33], v[30:31]
	global_load_dwordx4 v[30:33], v[156:157], off offset:496
	v_mul_f64 v[36:37], v[68:69], v[70:71]
	v_fma_f64 v[64:65], -v[66:67], v[36:37], v[68:69]
	s_waitcnt vmcnt(3)
	v_fma_f64 v[14:15], v[154:155], v[18:19], v[14:15]
	v_fma_f64 v[18:19], v[72:73], v[54:55], v[34:35]
	;; [unrolled: 1-line block ×3, first 2 shown]
	v_div_fmas_f64 v[36:37], v[64:65], v[70:71], v[36:37]
	v_fma_f64 v[20:21], v[114:115], v[14:15], 0
	v_div_fixup_f64 v[34:35], v[36:37], v[40:41], v[38:39]
	v_fma_f64 v[36:37], v[130:131], v[14:15], 0
	v_fma_f64 v[38:39], v[134:135], v[14:15], 0
	v_add_f64 v[16:17], v[16:17], -v[20:21]
	v_fma_f64 v[20:21], v[132:133], v[14:15], 0
	v_fma_f64 v[18:19], v[48:49], v[34:35], v[18:19]
	;; [unrolled: 1-line block ×5, first 2 shown]
	v_add_f64 v[18:19], v[98:99], -v[18:19]
	s_waitcnt vmcnt(2)
	v_fma_f64 v[10:11], v[154:155], v[22:23], v[10:11]
	v_fma_f64 v[22:23], v[94:95], v[16:17], v[36:37]
	;; [unrolled: 1-line block ×4, first 2 shown]
	v_div_scale_f64 v[36:37], null, v[42:43], v[42:43], v[18:19]
	v_add_f64 v[10:11], v[10:11], -v[22:23]
	v_fma_f64 v[24:25], v[104:105], v[16:17], v[24:25]
	v_rcp_f64_e32 v[22:23], v[36:37]
	s_waitcnt vmcnt(1)
	v_fma_f64 v[6:7], v[154:155], v[26:27], v[6:7]
	v_fma_f64 v[20:21], v[74:75], v[10:11], v[20:21]
	;; [unrolled: 1-line block ×6, first 2 shown]
	v_fma_f64 v[40:41], -v[36:37], v[22:23], 1.0
	v_add_f64 v[12:13], v[12:13], -v[20:21]
	v_fma_f64 v[26:27], v[82:83], v[10:11], v[26:27]
	v_fma_f64 v[20:21], v[22:23], v[40:41], v[22:23]
	v_fma_f64 v[22:23], v[14:15], v[140:141], 0
	v_fma_f64 v[14:15], v[14:15], v[60:61], 0
	v_fma_f64 v[38:39], v[168:169], v[12:13], v[38:39]
	v_fma_f64 v[24:25], v[92:93], v[12:13], v[24:25]
	v_fma_f64 v[26:27], v[162:163], v[12:13], v[26:27]
	v_fma_f64 v[40:41], -v[36:37], v[20:21], 1.0
	v_fma_f64 v[22:23], v[16:17], v[108:109], v[22:23]
	v_fma_f64 v[14:15], v[16:17], v[62:63], v[14:15]
	v_div_scale_f64 v[16:17], vcc_lo, v[18:19], v[42:43], v[18:19]
	v_add_f64 v[6:7], v[6:7], -v[38:39]
	v_fma_f64 v[20:21], v[20:21], v[40:41], v[20:21]
	v_fma_f64 v[22:23], v[10:11], v[84:85], v[22:23]
	;; [unrolled: 1-line block ×5, first 2 shown]
	v_mul_f64 v[14:15], v[16:17], v[20:21]
	v_fma_f64 v[22:23], v[12:13], v[178:179], v[22:23]
	v_fma_f64 v[10:11], v[12:13], v[76:77], v[10:11]
	v_add_f64 v[8:9], v[8:9], -v[24:25]
	v_fma_f64 v[12:13], -v[36:37], v[14:15], v[16:17]
	v_fma_f64 v[16:17], v[6:7], v[172:173], v[22:23]
	v_fma_f64 v[6:7], v[6:7], v[54:55], v[10:11]
	;; [unrolled: 1-line block ×3, first 2 shown]
	s_waitcnt vmcnt(0)
	v_fma_f64 v[2:3], v[154:155], v[30:31], v[2:3]
	v_fma_f64 v[4:5], v[154:155], v[32:33], v[4:5]
	v_div_fmas_f64 v[10:11], v[12:13], v[20:21], v[14:15]
	v_fma_f64 v[12:13], v[8:9], v[58:59], v[16:17]
	v_div_fixup_f64 v[14:15], v[46:47], v[42:43], v[44:45]
	v_fma_f64 v[6:7], v[8:9], v[34:35], v[6:7]
	v_add_f64 v[2:3], v[2:3], -v[22:23]
	v_div_fixup_f64 v[8:9], v[10:11], v[42:43], v[18:19]
	v_fma_f64 v[10:11], v[2:3], v[14:15], v[12:13]
	v_fma_f64 v[2:3], v[2:3], v[8:9], v[6:7]
	v_add_f64 v[4:5], v[4:5], -v[10:11]
	v_add_f64 v[2:3], v[100:101], -v[2:3]
	v_div_scale_f64 v[6:7], null, v[4:5], v[4:5], v[2:3]
	v_rcp_f64_e32 v[10:11], v[6:7]
	v_fma_f64 v[12:13], -v[6:7], v[10:11], 1.0
	v_fma_f64 v[10:11], v[10:11], v[12:13], v[10:11]
	v_fma_f64 v[12:13], -v[6:7], v[10:11], 1.0
	v_fma_f64 v[10:11], v[10:11], v[12:13], v[10:11]
	v_div_scale_f64 v[12:13], vcc_lo, v[2:3], v[4:5], v[2:3]
	v_mul_f64 v[16:17], v[12:13], v[10:11]
	v_fma_f64 v[6:7], -v[6:7], v[16:17], v[12:13]
	v_div_fmas_f64 v[6:7], v[6:7], v[10:11], v[16:17]
	v_add_co_u32 v18, vcc_lo, s43, v152
	v_add_co_ci_u32_e64 v19, null, s44, v153, vcc_lo
	v_add_co_u32 v150, vcc_lo, v150, 64
	v_add_co_ci_u32_e64 v151, null, 0, v151, vcc_lo
	v_cmp_le_i64_e32 vcc_lo, s[28:29], v[150:151]
	s_or_b32 s48, vcc_lo, s48
	v_div_fixup_f64 v[4:5], v[6:7], v[4:5], v[2:3]
	v_fma_f64 v[2:3], v[14:15], v[4:5], 0
	v_add_f64 v[2:3], v[8:9], -v[2:3]
	v_fma_f64 v[6:7], v[52:53], v[2:3], 0
	global_store_dwordx4 v[18:19], v[2:5], off offset:48
	v_fma_f64 v[6:7], v[58:59], v[4:5], v[6:7]
	v_add_f64 v[8:9], v[34:35], -v[6:7]
	v_fma_f64 v[6:7], v[56:57], v[8:9], 0
	v_fma_f64 v[6:7], v[170:171], v[2:3], v[6:7]
	v_fma_f64 v[6:7], v[172:173], v[4:5], v[6:7]
	v_add_f64 v[6:7], v[54:55], -v[6:7]
	v_fma_f64 v[10:11], v[168:169], v[6:7], 0
	global_store_dwordx4 v[18:19], v[6:9], off offset:32
	v_fma_f64 v[10:11], v[92:93], v[8:9], v[10:11]
	v_fma_f64 v[10:11], v[162:163], v[2:3], v[10:11]
	;; [unrolled: 1-line block ×3, first 2 shown]
	v_add_f64 v[12:13], v[76:77], -v[10:11]
	v_fma_f64 v[10:11], v[74:75], v[12:13], 0
	v_fma_f64 v[10:11], v[78:79], v[6:7], v[10:11]
	;; [unrolled: 1-line block ×5, first 2 shown]
	v_add_f64 v[10:11], v[86:87], -v[10:11]
	v_fma_f64 v[14:15], v[94:95], v[10:11], 0
	v_fma_f64 v[14:15], v[96:97], v[12:13], v[14:15]
	;; [unrolled: 1-line block ×6, first 2 shown]
	v_add_f64 v[16:17], v[62:63], -v[14:15]
	v_fma_f64 v[14:15], v[114:115], v[16:17], 0
	v_fma_f64 v[14:15], v[130:131], v[10:11], v[14:15]
	;; [unrolled: 1-line block ×7, first 2 shown]
	v_add_f64 v[14:15], v[60:61], -v[14:15]
	global_store_dwordx4 v[18:19], v[10:13], off offset:16
	global_store_dwordx4 v[18:19], v[14:17], off
	s_andn2_b32 exec_lo, exec_lo, s48
	s_cbranch_execz .LBB0_6
.LBB0_10:                               ;   Parent Loop BB0_7 Depth=1
                                        ; =>  This Inner Loop Header: Depth=2
	global_load_dwordx2 v[154:155], v[148:149], off
	s_waitcnt vmcnt(0)
	v_mad_u64_u32 v[158:159], null, v154, 48, s[20:21]
	v_mul_lo_u32 v6, v155, 48
	v_lshlrev_b64 v[152:153], 6, v[154:155]
	v_lshlrev_b64 v[156:157], 9, v[154:155]
	v_mad_u64_u32 v[160:161], null, v154, 48, s[18:19]
	v_add_co_u32 v4, vcc_lo, s33, v152
	v_add_nc_u32_e32 v159, v6, v159
	v_add_co_ci_u32_e64 v5, null, s34, v153, vcc_lo
	v_add_co_u32 v14, vcc_lo, s35, v156
	global_load_dwordx2 v[2:3], v[158:159], off
	v_add_co_ci_u32_e64 v15, null, s36, v157, vcc_lo
	s_clause 0x3
	global_load_dwordx4 v[98:101], v[4:5], off offset:48
	global_load_dwordx4 v[118:121], v[4:5], off offset:32
	;; [unrolled: 1-line block ×3, first 2 shown]
	global_load_dwordx4 v[126:129], v[4:5], off
	s_clause 0x11
	global_load_dwordx4 v[130:133], v[14:15], off offset:48
	global_load_dwordx4 v[134:137], v[14:15], off offset:32
	global_load_dwordx4 v[138:141], v[14:15], off offset:16
	global_load_dwordx4 v[142:145], v[14:15], off
	global_load_dwordx4 v[102:105], v[14:15], off offset:112
	global_load_dwordx4 v[106:109], v[14:15], off offset:96
	;; [unrolled: 1-line block ×14, first 2 shown]
	v_add_nc_u32_e32 v161, v6, v161
	s_waitcnt vmcnt(22)
	v_lshlrev_b64 v[2:3], 3, v[2:3]
	v_add_co_u32 v2, vcc_lo, s22, v2
	v_add_co_ci_u32_e64 v3, null, s23, v3, vcc_lo
	s_clause 0x3
	global_load_dwordx4 v[58:61], v[14:15], off offset:272
	global_load_dwordx4 v[62:65], v[14:15], off offset:256
	;; [unrolled: 1-line block ×4, first 2 shown]
	global_load_dwordx2 v[166:167], v[160:161], off
	global_load_dwordx2 v[162:163], v[2:3], off
	s_clause 0x9
	global_load_dwordx4 v[42:45], v[14:15], off offset:336
	global_load_dwordx4 v[46:49], v[14:15], off offset:320
	;; [unrolled: 1-line block ×10, first 2 shown]
	s_waitcnt vmcnt(11)
	v_cmp_ne_u64_e32 vcc_lo, 0, v[166:167]
	s_waitcnt vmcnt(10)
	v_cmp_lt_i64_e64 s0, -1, v[162:163]
	s_and_b32 s0, s0, vcc_lo
	s_and_saveexec_b32 s49, s0
	s_cbranch_execz .LBB0_12
; %bb.11:                               ;   in Loop: Header=BB0_10 Depth=2
	v_lshlrev_b64 v[178:179], 5, v[162:163]
	v_lshlrev_b64 v[162:163], 8, v[162:163]
	v_add_co_u32 v166, vcc_lo, s12, v178
	v_add_co_ci_u32_e64 v167, null, s13, v179, vcc_lo
	global_load_dwordx2 v[166:167], v[166:167], off
	s_waitcnt vmcnt(0)
	v_ashrrev_i32_e32 v168, 31, v167
	v_lshrrev_b32_e32 v168, 29, v168
	v_add_co_u32 v166, vcc_lo, v166, v168
	v_add_co_ci_u32_e64 v167, null, 0, v167, vcc_lo
	v_ashrrev_i64 v[166:167], 3, v[166:167]
	v_cmp_eq_u64_e32 vcc_lo, v[154:155], v[166:167]
	v_mov_b32_e32 v166, s14
	v_mov_b32_e32 v167, s15
	v_cndmask_b32_e32 v166, s12, v166, vcc_lo
	v_cndmask_b32_e32 v167, s13, v167, vcc_lo
	v_cndmask_b32_e64 v174, 0, 0x80, vcc_lo
	v_add_co_u32 v170, s0, v166, v178
	v_add_co_ci_u32_e64 v171, null, v167, v179, s0
	v_add_co_u32 v174, s0, s40, v174
	v_add_co_ci_u32_e64 v175, null, s41, 0, s0
	s_clause 0x1
	global_load_dwordx4 v[166:169], v[170:171], off
	global_load_dwordx4 v[170:173], v[170:171], off offset:16
	v_add_co_u32 v162, s0, v174, v162
	v_add_co_ci_u32_e64 v163, null, v175, v163, s0
	v_add_co_u32 v162, s0, v162, s24
	v_add_co_ci_u32_e64 v163, null, s25, v163, s0
	global_load_dwordx4 v[174:177], v[162:163], off
	s_waitcnt vmcnt(2)
	v_lshlrev_b64 v[166:167], 3, v[166:167]
	s_waitcnt vmcnt(1)
	v_lshlrev_b64 v[170:171], 3, v[170:171]
	v_add_co_u32 v166, s0, s37, v166
	v_add_co_ci_u32_e64 v167, null, s38, v167, s0
	global_load_dwordx2 v[206:207], v[166:167], off
	v_mov_b32_e32 v166, s12
	v_mov_b32_e32 v167, s13
	v_cndmask_b32_e32 v180, s14, v166, vcc_lo
	v_cndmask_b32_e32 v181, s15, v167, vcc_lo
	v_lshlrev_b64 v[166:167], 3, v[168:169]
	v_add_co_u32 v190, vcc_lo, v180, v178
	v_add_co_ci_u32_e64 v191, null, v181, v179, vcc_lo
	v_add_co_u32 v182, vcc_lo, s37, v166
	v_add_co_ci_u32_e64 v183, null, s38, v167, vcc_lo
	global_load_dwordx4 v[166:169], v[190:191], off
	global_load_dwordx4 v[178:181], v[162:163], off offset:16
	global_load_dwordx2 v[208:209], v[182:183], off
	v_add_co_u32 v170, vcc_lo, s37, v170
	v_add_co_ci_u32_e64 v171, null, s38, v171, vcc_lo
	global_load_dwordx4 v[182:185], v[162:163], off offset:32
	global_load_dwordx2 v[210:211], v[170:171], off
	v_lshlrev_b64 v[170:171], 3, v[172:173]
	v_add_co_u32 v170, vcc_lo, s37, v170
	v_add_co_ci_u32_e64 v171, null, s38, v171, vcc_lo
	global_load_dwordx2 v[212:213], v[170:171], off
	s_clause 0x1
	global_load_dwordx4 v[170:173], v[162:163], off offset:48
	global_load_dwordx4 v[186:189], v[162:163], off offset:64
	;; [unrolled: 1-line block ×3, first 2 shown]
	s_clause 0x2
	global_load_dwordx4 v[194:197], v[162:163], off offset:80
	global_load_dwordx4 v[198:201], v[162:163], off offset:96
	global_load_dwordx4 v[202:205], v[162:163], off offset:112
	s_waitcnt vmcnt(13)
	v_mul_f64 v[162:163], v[146:147], v[174:175]
	v_mul_f64 v[174:175], v[146:147], v[176:177]
	s_waitcnt vmcnt(12)
	v_fma_f64 v[162:163], v[162:163], v[206:207], 0
	s_waitcnt vmcnt(11)
	v_ashrrev_i32_e32 v214, 31, v167
	s_waitcnt vmcnt(10)
	v_mul_f64 v[176:177], v[146:147], v[178:179]
	v_mul_f64 v[178:179], v[146:147], v[180:181]
	s_waitcnt vmcnt(9)
	v_fma_f64 v[162:163], v[174:175], v[208:209], v[162:163]
	v_lshrrev_b32_e32 v174, 29, v214
	v_add_co_u32 v174, vcc_lo, v166, v174
	v_add_co_ci_u32_e64 v175, null, 0, v167, vcc_lo
	v_and_b32_e32 v174, -8, v174
	s_waitcnt vmcnt(5)
	v_mul_f64 v[170:171], v[146:147], v[170:171]
	v_mul_f64 v[172:173], v[146:147], v[172:173]
	v_sub_co_u32 v166, vcc_lo, v166, v174
	v_sub_co_ci_u32_e64 v167, null, v167, v175, vcc_lo
	v_mul_f64 v[174:175], v[146:147], v[182:183]
	v_fma_f64 v[162:163], v[176:177], v[210:211], v[162:163]
	v_cmp_eq_u64_e32 vcc_lo, 1, v[166:167]
	v_cmp_eq_u64_e64 s0, 2, v[166:167]
	v_cmp_eq_u64_e64 s1, 3, v[166:167]
	;; [unrolled: 1-line block ×5, first 2 shown]
	v_cndmask_b32_e32 v176, v127, v129, vcc_lo
	v_cndmask_b32_e32 v177, v126, v128, vcc_lo
	v_cmp_eq_u64_e64 s5, 7, v[166:167]
	v_cndmask_b32_e64 v180, v176, v123, s0
	v_cndmask_b32_e64 v181, v177, v122, s0
	v_mul_f64 v[176:177], v[146:147], v[184:185]
	v_cndmask_b32_e64 v180, v180, v125, s1
	v_cndmask_b32_e64 v181, v181, v124, s1
	v_fma_f64 v[174:175], v[174:175], v[206:207], 0
	v_fma_f64 v[162:163], v[178:179], v[212:213], v[162:163]
	v_cndmask_b32_e64 v178, v180, v119, s2
	v_cndmask_b32_e64 v179, v181, v118, s2
	v_ashrrev_i32_e32 v181, 31, v169
	v_cndmask_b32_e64 v178, v178, v121, s3
	v_cndmask_b32_e64 v179, v179, v120, s3
	;; [unrolled: 1-line block ×6, first 2 shown]
	v_lshrrev_b32_e32 v180, 29, v181
	v_fma_f64 v[174:175], v[176:177], v[208:209], v[174:175]
	v_add_f64 v[162:163], v[178:179], -v[162:163]
	v_add_co_u32 v176, s6, v168, v180
	v_add_co_ci_u32_e64 v177, null, 0, v169, s6
	v_and_b32_e32 v176, -8, v176
	v_sub_co_u32 v168, s6, v168, v176
	v_sub_co_ci_u32_e64 v169, null, v169, v177, s6
	s_waitcnt vmcnt(4)
	v_mul_f64 v[176:177], v[146:147], v[186:187]
	v_cmp_eq_u64_e64 s6, 0, v[166:167]
	v_mul_f64 v[166:167], v[146:147], v[188:189]
	v_cmp_eq_u64_e64 s7, 1, v[168:169]
	v_cmp_eq_u64_e64 s8, 2, v[168:169]
	v_fma_f64 v[170:171], v[170:171], v[210:211], v[174:175]
	v_cmp_eq_u64_e64 s9, 3, v[168:169]
	v_cndmask_b32_e64 v174, v126, v162, s6
	v_cndmask_b32_e32 v129, v129, v163, vcc_lo
	v_cndmask_b32_e64 v175, v127, v163, s6
	v_cndmask_b32_e32 v128, v128, v162, vcc_lo
	v_cndmask_b32_e64 v178, v122, v162, s0
	v_cndmask_b32_e64 v179, v123, v163, s0
	;; [unrolled: 1-line block ×6, first 2 shown]
	v_cmp_eq_u64_e32 vcc_lo, 4, v[168:169]
	v_cmp_eq_u64_e64 s0, 5, v[168:169]
	v_cndmask_b32_e64 v124, v122, v179, s8
	v_cndmask_b32_e64 v125, v123, v178, s8
	v_cmp_eq_u64_e64 s1, 6, v[168:169]
	v_fma_f64 v[122:123], v[176:177], v[206:207], 0
	v_cndmask_b32_e64 v176, v118, v162, s2
	v_cndmask_b32_e64 v177, v119, v163, s2
	;; [unrolled: 1-line block ×4, first 2 shown]
	v_fma_f64 v[118:119], v[172:173], v[212:213], v[170:171]
	v_cndmask_b32_e64 v170, v120, v162, s3
	v_cndmask_b32_e64 v171, v121, v163, s3
	v_cndmask_b32_e32 v120, v124, v177, vcc_lo
	v_cndmask_b32_e32 v121, v125, v176, vcc_lo
	v_cndmask_b32_e64 v172, v98, v162, s4
	v_cndmask_b32_e64 v173, v99, v163, s4
	v_cmp_eq_u64_e64 s2, 7, v[168:169]
	v_cndmask_b32_e64 v98, v120, v171, s0
	v_cndmask_b32_e64 v99, v121, v170, s0
	;; [unrolled: 1-line block ×4, first 2 shown]
	s_waitcnt vmcnt(3)
	v_ashrrev_i32_e32 v101, 31, v191
	v_cndmask_b32_e64 v98, v98, v173, s1
	v_cndmask_b32_e64 v100, v99, v172, s1
	s_waitcnt vmcnt(1)
	v_mul_f64 v[126:127], v[146:147], v[200:201]
	v_lshrrev_b32_e32 v124, 29, v101
	v_cndmask_b32_e64 v99, v98, v163, s2
	v_cndmask_b32_e64 v98, v100, v162, s2
	v_mul_f64 v[100:101], v[146:147], v[194:195]
	v_fma_f64 v[120:121], v[166:167], v[208:209], v[122:123]
	v_mul_f64 v[122:123], v[146:147], v[198:199]
	v_add_f64 v[98:99], v[98:99], -v[118:119]
	v_add_co_u32 v118, s3, v190, v124
	v_add_co_ci_u32_e64 v119, null, 0, v191, s3
	v_mul_f64 v[124:125], v[146:147], v[196:197]
	v_and_b32_e32 v118, -8, v118
	v_sub_co_u32 v118, s3, v190, v118
	v_sub_co_ci_u32_e64 v119, null, v191, v119, s3
	v_cmp_eq_u64_e64 s3, 0, v[168:169]
	v_cmp_eq_u64_e64 s4, 1, v[118:119]
	v_fma_f64 v[100:101], v[100:101], v[210:211], v[120:121]
	v_cmp_eq_u64_e64 s5, 2, v[118:119]
	v_cmp_eq_u64_e64 s6, 3, v[118:119]
	v_cndmask_b32_e64 v166, v174, v98, s3
	v_cndmask_b32_e64 v129, v129, v99, s7
	v_cndmask_b32_e64 v167, v175, v99, s3
	v_cndmask_b32_e64 v128, v128, v98, s7
	v_cndmask_b32_e64 v168, v178, v98, s8
	v_cndmask_b32_e64 v169, v179, v99, s8
	v_cndmask_b32_e64 v174, v180, v98, s9
	v_cndmask_b32_e64 v120, v167, v129, s4
	v_cndmask_b32_e64 v121, v166, v128, s4
	v_cndmask_b32_e64 v175, v181, v99, s9
	v_cmp_eq_u64_e64 s3, 4, v[118:119]
	v_cndmask_b32_e32 v176, v176, v98, vcc_lo
	v_cndmask_b32_e64 v178, v120, v169, s5
	v_cndmask_b32_e64 v179, v121, v168, s5
	v_fma_f64 v[120:121], v[122:123], v[206:207], 0
	v_cndmask_b32_e32 v177, v177, v99, vcc_lo
	v_cmp_eq_u64_e64 s7, 5, v[118:119]
	v_cndmask_b32_e64 v122, v178, v175, s6
	v_cndmask_b32_e64 v123, v179, v174, s6
	v_fma_f64 v[100:101], v[124:125], v[212:213], v[100:101]
	v_cndmask_b32_e64 v124, v170, v98, s0
	v_cndmask_b32_e64 v125, v171, v99, s0
	;; [unrolled: 1-line block ×4, first 2 shown]
	v_cmp_eq_u64_e32 vcc_lo, 6, v[118:119]
	v_cndmask_b32_e64 v170, v172, v98, s1
	v_cndmask_b32_e64 v171, v173, v99, s1
	;; [unrolled: 1-line block ×4, first 2 shown]
	v_cmp_eq_u64_e64 s0, 7, v[118:119]
	v_cndmask_b32_e64 v162, v162, v98, s2
	v_cndmask_b32_e64 v163, v163, v99, s2
	v_cndmask_b32_e32 v98, v122, v171, vcc_lo
	v_cndmask_b32_e32 v122, v123, v170, vcc_lo
	v_ashrrev_i32_e32 v172, 31, v193
	v_fma_f64 v[120:121], v[126:127], v[208:209], v[120:121]
	v_cndmask_b32_e64 v99, v98, v163, s0
	v_cndmask_b32_e64 v98, v122, v162, s0
	s_waitcnt vmcnt(0)
	v_mul_f64 v[122:123], v[146:147], v[202:203]
	v_lshrrev_b32_e32 v126, 29, v172
	v_add_f64 v[98:99], v[98:99], -v[100:101]
	v_add_co_u32 v100, s1, v192, v126
	v_add_co_ci_u32_e64 v101, null, 0, v193, s1
	v_and_b32_e32 v100, -8, v100
	v_sub_co_u32 v100, s1, v192, v100
	v_sub_co_ci_u32_e64 v101, null, v193, v101, s1
	v_cmp_eq_u64_e64 s1, 0, v[118:119]
	v_mul_f64 v[118:119], v[146:147], v[204:205]
	v_fma_f64 v[120:121], v[122:123], v[210:211], v[120:121]
	v_cmp_eq_u64_e64 s2, 1, v[100:101]
	v_cmp_eq_u64_e64 s8, 2, v[100:101]
	v_cndmask_b32_e64 v166, v166, v98, s1
	v_cndmask_b32_e64 v129, v129, v99, s4
	;; [unrolled: 1-line block ×6, first 2 shown]
	v_cmp_eq_u64_e64 s1, 3, v[100:101]
	v_cndmask_b32_e64 v126, v167, v129, s2
	v_cndmask_b32_e64 v127, v166, v128, s2
	;; [unrolled: 1-line block ×4, first 2 shown]
	v_cmp_eq_u64_e64 s4, 4, v[100:101]
	v_cndmask_b32_e64 v126, v126, v123, s8
	v_cndmask_b32_e64 v127, v127, v122, s8
	v_cndmask_b32_e64 v172, v176, v98, s3
	v_cndmask_b32_e64 v173, v177, v99, s3
	v_cmp_eq_u64_e64 s5, 5, v[100:101]
	v_cndmask_b32_e64 v126, v126, v169, s1
	v_cndmask_b32_e64 v127, v127, v168, s1
	v_fma_f64 v[118:119], v[118:119], v[212:213], v[120:121]
	v_cndmask_b32_e64 v120, v124, v98, s7
	v_cndmask_b32_e64 v121, v125, v99, s7
	;; [unrolled: 1-line block ×4, first 2 shown]
	v_cmp_eq_u64_e64 s3, 6, v[100:101]
	v_cndmask_b32_e32 v170, v170, v98, vcc_lo
	v_cndmask_b32_e32 v171, v171, v99, vcc_lo
	v_cndmask_b32_e64 v124, v124, v121, s5
	v_cndmask_b32_e64 v125, v125, v120, s5
	v_cmp_eq_u64_e32 vcc_lo, 7, v[100:101]
	v_cndmask_b32_e64 v162, v162, v98, s0
	v_cndmask_b32_e64 v163, v163, v99, s0
	;; [unrolled: 1-line block ×4, first 2 shown]
	v_cmp_eq_u64_e64 s0, 0, v[100:101]
	v_cndmask_b32_e32 v99, v98, v163, vcc_lo
	v_cndmask_b32_e32 v98, v124, v162, vcc_lo
	v_add_f64 v[126:127], v[98:99], -v[118:119]
	v_cndmask_b32_e32 v101, v163, v127, vcc_lo
	v_cndmask_b32_e32 v100, v162, v126, vcc_lo
	v_cndmask_b32_e64 v99, v171, v127, s3
	v_cndmask_b32_e64 v98, v170, v126, s3
	;; [unrolled: 1-line block ×14, first 2 shown]
.LBB0_12:                               ;   in Loop: Header=BB0_10 Depth=2
	s_or_b32 exec_lo, exec_lo, s49
	global_load_dwordx2 v[162:163], v[158:159], off offset:8
	s_waitcnt vmcnt(0)
	v_lshlrev_b64 v[162:163], 3, v[162:163]
	v_add_co_u32 v162, vcc_lo, s22, v162
	v_add_co_ci_u32_e64 v163, null, s23, v163, vcc_lo
	global_load_dwordx2 v[166:167], v[160:161], off offset:8
	global_load_dwordx2 v[162:163], v[162:163], off
	s_waitcnt vmcnt(1)
	v_cmp_ne_u64_e32 vcc_lo, 0, v[166:167]
	s_waitcnt vmcnt(0)
	v_cmp_lt_i64_e64 s0, -1, v[162:163]
	s_and_b32 s0, s0, vcc_lo
	s_and_saveexec_b32 s8, s0
	s_cbranch_execz .LBB0_14
; %bb.13:                               ;   in Loop: Header=BB0_10 Depth=2
	v_lshlrev_b64 v[178:179], 5, v[162:163]
	v_lshlrev_b64 v[162:163], 8, v[162:163]
	v_add_co_u32 v166, vcc_lo, s12, v178
	v_add_co_ci_u32_e64 v167, null, s13, v179, vcc_lo
	global_load_dwordx2 v[166:167], v[166:167], off
	s_waitcnt vmcnt(0)
	v_ashrrev_i32_e32 v168, 31, v167
	v_lshrrev_b32_e32 v168, 29, v168
	v_add_co_u32 v166, vcc_lo, v166, v168
	v_add_co_ci_u32_e64 v167, null, 0, v167, vcc_lo
	v_mov_b32_e32 v168, s13
	v_ashrrev_i64 v[166:167], 3, v[166:167]
	v_cmp_eq_u64_e32 vcc_lo, v[154:155], v[166:167]
	v_mov_b32_e32 v166, s14
	v_mov_b32_e32 v167, s15
	v_cndmask_b32_e32 v166, s12, v166, vcc_lo
	v_cndmask_b32_e32 v167, s13, v167, vcc_lo
	;; [unrolled: 1-line block ×3, first 2 shown]
	v_cndmask_b32_e64 v174, 0, 0x80, vcc_lo
	v_add_co_u32 v170, s0, v166, v178
	v_add_co_ci_u32_e64 v171, null, v167, v179, s0
	v_add_co_u32 v174, s0, s40, v174
	v_add_co_ci_u32_e64 v175, null, s41, 0, s0
	s_clause 0x1
	global_load_dwordx4 v[166:169], v[170:171], off
	global_load_dwordx4 v[170:173], v[170:171], off offset:16
	v_add_co_u32 v162, s0, v174, v162
	v_add_co_ci_u32_e64 v163, null, v175, v163, s0
	v_add_co_u32 v162, s0, v162, s24
	v_add_co_ci_u32_e64 v163, null, s25, v163, s0
	global_load_dwordx4 v[174:177], v[162:163], off
	s_waitcnt vmcnt(2)
	v_lshlrev_b64 v[166:167], 3, v[166:167]
	s_waitcnt vmcnt(1)
	v_lshlrev_b64 v[170:171], 3, v[170:171]
	v_lshlrev_b64 v[190:191], 3, v[172:173]
	v_add_co_u32 v166, s0, s37, v166
	v_add_co_ci_u32_e64 v167, null, s38, v167, s0
	global_load_dwordx2 v[206:207], v[166:167], off
	v_mov_b32_e32 v166, s12
	v_cndmask_b32_e32 v181, s14, v166, vcc_lo
	v_lshlrev_b64 v[166:167], 3, v[168:169]
	v_add_co_u32 v198, vcc_lo, v181, v178
	v_add_co_ci_u32_e64 v199, null, v180, v179, vcc_lo
	v_add_co_u32 v186, vcc_lo, s37, v166
	v_add_co_ci_u32_e64 v187, null, s38, v167, vcc_lo
	global_load_dwordx4 v[166:169], v[198:199], off
	s_clause 0x1
	global_load_dwordx4 v[178:181], v[162:163], off offset:16
	global_load_dwordx4 v[182:185], v[162:163], off offset:32
	global_load_dwordx2 v[208:209], v[186:187], off
	v_add_co_u32 v170, vcc_lo, s37, v170
	v_add_co_ci_u32_e64 v171, null, s38, v171, vcc_lo
	v_add_co_u32 v190, vcc_lo, s37, v190
	v_add_co_ci_u32_e64 v191, null, s38, v191, vcc_lo
	global_load_dwordx2 v[210:211], v[170:171], off
	s_clause 0x1
	global_load_dwordx4 v[170:173], v[162:163], off offset:48
	global_load_dwordx4 v[186:189], v[162:163], off offset:64
	global_load_dwordx2 v[212:213], v[190:191], off
	s_clause 0x1
	global_load_dwordx4 v[190:193], v[162:163], off offset:80
	global_load_dwordx4 v[194:197], v[162:163], off offset:96
	;; [unrolled: 1-line block ×4, first 2 shown]
	s_waitcnt vmcnt(13)
	v_mul_f64 v[162:163], v[146:147], v[174:175]
	v_mul_f64 v[174:175], v[146:147], v[176:177]
	s_waitcnt vmcnt(12)
	v_fma_f64 v[162:163], v[162:163], v[206:207], 0
	s_waitcnt vmcnt(11)
	v_ashrrev_i32_e32 v214, 31, v167
	s_waitcnt vmcnt(10)
	v_mul_f64 v[176:177], v[146:147], v[178:179]
	s_waitcnt vmcnt(9)
	v_mul_f64 v[178:179], v[146:147], v[182:183]
	s_waitcnt vmcnt(8)
	v_fma_f64 v[162:163], v[174:175], v[208:209], v[162:163]
	v_lshrrev_b32_e32 v174, 29, v214
	s_waitcnt vmcnt(6)
	v_mul_f64 v[170:171], v[146:147], v[170:171]
	v_add_co_u32 v174, vcc_lo, v166, v174
	v_add_co_ci_u32_e64 v182, null, 0, v167, vcc_lo
	v_mul_f64 v[172:173], v[146:147], v[172:173]
	v_and_b32_e32 v183, -8, v174
	v_mul_f64 v[174:175], v[146:147], v[180:181]
	v_mul_f64 v[180:181], v[146:147], v[184:185]
	v_sub_co_u32 v166, vcc_lo, v166, v183
	v_sub_co_ci_u32_e64 v167, null, v167, v182, vcc_lo
	v_fma_f64 v[178:179], v[178:179], v[206:207], 0
	v_fma_f64 v[162:163], v[176:177], v[210:211], v[162:163]
	v_cmp_eq_u64_e32 vcc_lo, 1, v[166:167]
	v_cmp_eq_u64_e64 s0, 2, v[166:167]
	v_cmp_eq_u64_e64 s1, 3, v[166:167]
	;; [unrolled: 1-line block ×5, first 2 shown]
	v_cndmask_b32_e32 v176, v127, v129, vcc_lo
	v_cndmask_b32_e32 v177, v126, v128, vcc_lo
	v_cmp_eq_u64_e64 s5, 7, v[166:167]
	v_cndmask_b32_e64 v176, v176, v123, s0
	v_cndmask_b32_e64 v182, v177, v122, s0
	;; [unrolled: 1-line block ×4, first 2 shown]
	s_waitcnt vmcnt(5)
	v_mul_f64 v[176:177], v[146:147], v[186:187]
	v_fma_f64 v[178:179], v[180:181], v[208:209], v[178:179]
	s_waitcnt vmcnt(4)
	v_fma_f64 v[162:163], v[174:175], v[212:213], v[162:163]
	v_cndmask_b32_e64 v183, v183, v119, s2
	v_cndmask_b32_e64 v174, v182, v118, s2
	v_ashrrev_i32_e32 v182, 31, v169
	v_mul_f64 v[180:181], v[146:147], v[188:189]
	v_cndmask_b32_e64 v175, v183, v121, s3
	v_cndmask_b32_e64 v174, v174, v120, s3
	;; [unrolled: 1-line block ×6, first 2 shown]
	v_fma_f64 v[176:177], v[176:177], v[206:207], 0
	v_fma_f64 v[170:171], v[170:171], v[210:211], v[178:179]
	v_add_f64 v[162:163], v[174:175], -v[162:163]
	v_lshrrev_b32_e32 v174, 29, v182
	s_waitcnt vmcnt(2)
	v_mul_f64 v[178:179], v[146:147], v[194:195]
	v_add_co_u32 v174, s6, v168, v174
	v_add_co_ci_u32_e64 v182, null, 0, v169, s6
	v_cmp_eq_u64_e64 s6, 0, v[166:167]
	v_and_b32_e32 v183, -8, v174
	v_mul_f64 v[174:175], v[146:147], v[190:191]
	v_sub_co_u32 v166, s7, v168, v183
	v_sub_co_ci_u32_e64 v167, null, v169, v182, s7
	v_fma_f64 v[168:169], v[180:181], v[208:209], v[176:177]
	v_fma_f64 v[170:171], v[172:173], v[212:213], v[170:171]
	v_cndmask_b32_e64 v172, v126, v162, s6
	v_cndmask_b32_e64 v173, v127, v163, s6
	v_cmp_eq_u64_e64 s6, 1, v[166:167]
	v_cndmask_b32_e32 v129, v129, v163, vcc_lo
	v_cndmask_b32_e32 v128, v128, v162, vcc_lo
	v_cmp_eq_u64_e32 vcc_lo, 2, v[166:167]
	v_cndmask_b32_e64 v176, v122, v162, s0
	v_cndmask_b32_e64 v177, v123, v163, s0
	v_cndmask_b32_e64 v122, v173, v129, s6
	v_cndmask_b32_e64 v123, v172, v128, s6
	v_cmp_eq_u64_e64 s0, 3, v[166:167]
	v_cndmask_b32_e64 v180, v124, v162, s1
	v_cndmask_b32_e64 v181, v125, v163, s1
	v_cndmask_b32_e32 v122, v122, v177, vcc_lo
	v_cndmask_b32_e32 v123, v123, v176, vcc_lo
	v_cmp_eq_u64_e64 s1, 4, v[166:167]
	v_cndmask_b32_e64 v182, v118, v162, s2
	v_cndmask_b32_e64 v183, v119, v163, s2
	v_cndmask_b32_e64 v118, v122, v181, s0
	v_cndmask_b32_e64 v119, v123, v180, s0
	v_cmp_eq_u64_e64 s2, 5, v[166:167]
	v_cndmask_b32_e64 v184, v120, v162, s3
	v_cndmask_b32_e64 v185, v121, v163, s3
	v_cndmask_b32_e64 v118, v118, v183, s1
	v_cndmask_b32_e64 v119, v119, v182, s1
	;; [unrolled: 5-line block ×4, first 2 shown]
	s_waitcnt vmcnt(1)
	v_ashrrev_i32_e32 v124, 31, v199
	v_fma_f64 v[122:123], v[174:175], v[210:211], v[168:169]
	v_mul_f64 v[118:119], v[146:147], v[196:197]
	v_cndmask_b32_e64 v99, v98, v163, s4
	v_cndmask_b32_e64 v98, v100, v162, s4
	v_mul_f64 v[100:101], v[146:147], v[192:193]
	v_lshrrev_b32_e32 v124, 29, v124
	v_fma_f64 v[120:121], v[178:179], v[206:207], 0
	v_add_f64 v[98:99], v[98:99], -v[170:171]
	v_add_co_u32 v124, s5, v198, v124
	v_add_co_ci_u32_e64 v127, null, 0, v199, s5
	v_cmp_eq_u64_e64 s5, 0, v[166:167]
	v_and_b32_e32 v126, -8, v124
	s_waitcnt vmcnt(0)
	v_mul_f64 v[124:125], v[146:147], v[202:203]
	v_sub_co_u32 v126, s7, v198, v126
	v_sub_co_ci_u32_e64 v127, null, v199, v127, s7
	v_fma_f64 v[100:101], v[100:101], v[212:213], v[122:123]
	v_fma_f64 v[118:119], v[118:119], v[208:209], v[120:121]
	v_cndmask_b32_e64 v122, v172, v98, s5
	v_cndmask_b32_e64 v123, v129, v99, s6
	;; [unrolled: 1-line block ×3, first 2 shown]
	v_cmp_eq_u64_e64 s5, 1, v[126:127]
	v_cndmask_b32_e64 v128, v128, v98, s6
	v_cndmask_b32_e32 v166, v176, v98, vcc_lo
	v_cndmask_b32_e32 v167, v177, v99, vcc_lo
	v_cmp_eq_u64_e32 vcc_lo, 2, v[126:127]
	v_cndmask_b32_e64 v168, v180, v98, s0
	v_cndmask_b32_e64 v120, v129, v123, s5
	;; [unrolled: 1-line block ×4, first 2 shown]
	v_cmp_eq_u64_e64 s0, 3, v[126:127]
	v_cndmask_b32_e64 v170, v182, v98, s1
	v_cndmask_b32_e32 v120, v120, v167, vcc_lo
	v_cndmask_b32_e32 v121, v121, v166, vcc_lo
	v_cndmask_b32_e64 v171, v183, v99, s1
	v_cmp_eq_u64_e64 s1, 4, v[126:127]
	v_cndmask_b32_e64 v172, v184, v98, s2
	v_cndmask_b32_e64 v120, v120, v169, s0
	v_cndmask_b32_e64 v121, v121, v168, s0
	v_cndmask_b32_e64 v173, v185, v99, s2
	v_cmp_eq_u64_e64 s2, 5, v[126:127]
	v_cndmask_b32_e64 v174, v186, v98, s3
	v_cndmask_b32_e64 v120, v120, v171, s1
	v_cndmask_b32_e64 v121, v121, v170, s1
	;; [unrolled: 5-line block ×3, first 2 shown]
	v_cndmask_b32_e64 v163, v163, v99, s4
	v_cmp_eq_u64_e64 s4, 7, v[126:127]
	v_ashrrev_i32_e32 v176, 31, v201
	v_cndmask_b32_e64 v98, v120, v175, s3
	v_cndmask_b32_e64 v120, v121, v174, s3
	v_fma_f64 v[118:119], v[124:125], v[210:211], v[118:119]
	v_cndmask_b32_e64 v99, v98, v163, s4
	v_cndmask_b32_e64 v98, v120, v162, s4
	v_mul_f64 v[120:121], v[146:147], v[204:205]
	v_add_f64 v[98:99], v[98:99], -v[100:101]
	v_lshrrev_b32_e32 v100, 29, v176
	v_add_co_u32 v100, s6, v200, v100
	v_add_co_ci_u32_e64 v101, null, 0, v201, s6
	v_cmp_eq_u64_e64 s6, 0, v[126:127]
	v_and_b32_e32 v100, -8, v100
	v_sub_co_u32 v100, s7, v200, v100
	v_sub_co_ci_u32_e64 v101, null, v201, v101, s7
	v_fma_f64 v[118:119], v[120:121], v[212:213], v[118:119]
	v_cndmask_b32_e64 v176, v122, v98, s6
	v_cndmask_b32_e64 v178, v129, v99, s6
	v_cmp_eq_u64_e64 s6, 1, v[100:101]
	v_cndmask_b32_e64 v177, v123, v99, s5
	v_cndmask_b32_e64 v128, v128, v98, s5
	v_cndmask_b32_e32 v122, v166, v98, vcc_lo
	v_cndmask_b32_e32 v123, v167, v99, vcc_lo
	v_cmp_eq_u64_e32 vcc_lo, 2, v[100:101]
	v_cndmask_b32_e64 v120, v178, v177, s6
	v_cndmask_b32_e64 v121, v176, v128, s6
	;; [unrolled: 1-line block ×4, first 2 shown]
	v_cmp_eq_u64_e64 s0, 3, v[100:101]
	v_cndmask_b32_e32 v120, v120, v123, vcc_lo
	v_cndmask_b32_e32 v121, v121, v122, vcc_lo
	v_cndmask_b32_e64 v129, v170, v98, s1
	v_cndmask_b32_e64 v166, v171, v99, s1
	v_cmp_eq_u64_e64 s1, 4, v[100:101]
	v_cndmask_b32_e64 v120, v120, v125, s0
	v_cndmask_b32_e64 v121, v121, v124, s0
	v_cndmask_b32_e64 v167, v172, v98, s2
	v_cndmask_b32_e64 v168, v173, v99, s2
	v_cmp_eq_u64_e64 s2, 5, v[100:101]
	v_cndmask_b32_e64 v120, v120, v166, s1
	v_cndmask_b32_e64 v121, v121, v129, s1
	v_cndmask_b32_e64 v169, v174, v98, s3
	v_cndmask_b32_e64 v170, v175, v99, s3
	v_cmp_eq_u64_e64 s3, 6, v[100:101]
	v_cndmask_b32_e64 v120, v120, v168, s2
	v_cndmask_b32_e64 v121, v121, v167, s2
	v_cndmask_b32_e64 v162, v162, v98, s4
	v_cndmask_b32_e64 v163, v163, v99, s4
	v_cmp_eq_u64_e64 s4, 7, v[100:101]
	v_cndmask_b32_e64 v98, v120, v170, s3
	v_cndmask_b32_e64 v120, v121, v169, s3
	v_cmp_eq_u64_e64 s5, 0, v[100:101]
	v_cndmask_b32_e64 v99, v98, v163, s4
	v_cndmask_b32_e64 v98, v120, v162, s4
	v_add_f64 v[126:127], v[98:99], -v[118:119]
	v_cndmask_b32_e64 v101, v163, v127, s4
	v_cndmask_b32_e64 v100, v162, v126, s4
	;; [unrolled: 1-line block ×10, first 2 shown]
	v_cndmask_b32_e32 v123, v123, v127, vcc_lo
	v_cndmask_b32_e32 v122, v122, v126, vcc_lo
	v_cndmask_b32_e64 v129, v177, v127, s6
	v_cndmask_b32_e64 v128, v128, v126, s6
	;; [unrolled: 1-line block ×4, first 2 shown]
.LBB0_14:                               ;   in Loop: Header=BB0_10 Depth=2
	s_or_b32 exec_lo, exec_lo, s8
	global_load_dwordx2 v[162:163], v[158:159], off offset:16
	s_waitcnt vmcnt(0)
	v_lshlrev_b64 v[162:163], 3, v[162:163]
	v_add_co_u32 v162, vcc_lo, s22, v162
	v_add_co_ci_u32_e64 v163, null, s23, v163, vcc_lo
	global_load_dwordx2 v[166:167], v[160:161], off offset:16
	global_load_dwordx2 v[162:163], v[162:163], off
	s_waitcnt vmcnt(1)
	v_cmp_ne_u64_e32 vcc_lo, 0, v[166:167]
	s_waitcnt vmcnt(0)
	v_cmp_lt_i64_e64 s0, -1, v[162:163]
	s_and_b32 s0, s0, vcc_lo
	s_and_saveexec_b32 s8, s0
	s_cbranch_execz .LBB0_16
; %bb.15:                               ;   in Loop: Header=BB0_10 Depth=2
	v_lshlrev_b64 v[178:179], 5, v[162:163]
	v_lshlrev_b64 v[162:163], 8, v[162:163]
	v_add_co_u32 v166, vcc_lo, s12, v178
	v_add_co_ci_u32_e64 v167, null, s13, v179, vcc_lo
	global_load_dwordx2 v[166:167], v[166:167], off
	s_waitcnt vmcnt(0)
	v_ashrrev_i32_e32 v168, 31, v167
	v_lshrrev_b32_e32 v168, 29, v168
	v_add_co_u32 v166, vcc_lo, v166, v168
	v_add_co_ci_u32_e64 v167, null, 0, v167, vcc_lo
	v_mov_b32_e32 v168, s13
	v_ashrrev_i64 v[166:167], 3, v[166:167]
	v_cmp_eq_u64_e32 vcc_lo, v[154:155], v[166:167]
	v_mov_b32_e32 v166, s14
	v_mov_b32_e32 v167, s15
	v_cndmask_b32_e32 v166, s12, v166, vcc_lo
	v_cndmask_b32_e32 v167, s13, v167, vcc_lo
	;; [unrolled: 1-line block ×3, first 2 shown]
	v_cndmask_b32_e64 v174, 0, 0x80, vcc_lo
	v_add_co_u32 v170, s0, v166, v178
	v_add_co_ci_u32_e64 v171, null, v167, v179, s0
	v_add_co_u32 v174, s0, s40, v174
	v_add_co_ci_u32_e64 v175, null, s41, 0, s0
	s_clause 0x1
	global_load_dwordx4 v[166:169], v[170:171], off
	global_load_dwordx4 v[170:173], v[170:171], off offset:16
	v_add_co_u32 v162, s0, v174, v162
	v_add_co_ci_u32_e64 v163, null, v175, v163, s0
	v_add_co_u32 v162, s0, v162, s24
	v_add_co_ci_u32_e64 v163, null, s25, v163, s0
	global_load_dwordx4 v[174:177], v[162:163], off
	s_waitcnt vmcnt(2)
	v_lshlrev_b64 v[166:167], 3, v[166:167]
	s_waitcnt vmcnt(1)
	v_lshlrev_b64 v[170:171], 3, v[170:171]
	v_lshlrev_b64 v[190:191], 3, v[172:173]
	v_add_co_u32 v166, s0, s37, v166
	v_add_co_ci_u32_e64 v167, null, s38, v167, s0
	global_load_dwordx2 v[206:207], v[166:167], off
	v_mov_b32_e32 v166, s12
	v_cndmask_b32_e32 v181, s14, v166, vcc_lo
	v_lshlrev_b64 v[166:167], 3, v[168:169]
	v_add_co_u32 v198, vcc_lo, v181, v178
	v_add_co_ci_u32_e64 v199, null, v180, v179, vcc_lo
	v_add_co_u32 v186, vcc_lo, s37, v166
	v_add_co_ci_u32_e64 v187, null, s38, v167, vcc_lo
	global_load_dwordx4 v[166:169], v[198:199], off
	s_clause 0x1
	global_load_dwordx4 v[178:181], v[162:163], off offset:16
	global_load_dwordx4 v[182:185], v[162:163], off offset:32
	global_load_dwordx2 v[208:209], v[186:187], off
	v_add_co_u32 v170, vcc_lo, s37, v170
	v_add_co_ci_u32_e64 v171, null, s38, v171, vcc_lo
	v_add_co_u32 v190, vcc_lo, s37, v190
	v_add_co_ci_u32_e64 v191, null, s38, v191, vcc_lo
	global_load_dwordx2 v[210:211], v[170:171], off
	s_clause 0x1
	global_load_dwordx4 v[170:173], v[162:163], off offset:48
	global_load_dwordx4 v[186:189], v[162:163], off offset:64
	global_load_dwordx2 v[212:213], v[190:191], off
	s_clause 0x1
	global_load_dwordx4 v[190:193], v[162:163], off offset:80
	global_load_dwordx4 v[194:197], v[162:163], off offset:96
	;; [unrolled: 1-line block ×4, first 2 shown]
	s_waitcnt vmcnt(13)
	v_mul_f64 v[162:163], v[146:147], v[174:175]
	v_mul_f64 v[174:175], v[146:147], v[176:177]
	s_waitcnt vmcnt(12)
	v_fma_f64 v[162:163], v[162:163], v[206:207], 0
	s_waitcnt vmcnt(11)
	v_ashrrev_i32_e32 v214, 31, v167
	s_waitcnt vmcnt(10)
	v_mul_f64 v[176:177], v[146:147], v[178:179]
	s_waitcnt vmcnt(9)
	v_mul_f64 v[178:179], v[146:147], v[182:183]
	s_waitcnt vmcnt(8)
	v_fma_f64 v[162:163], v[174:175], v[208:209], v[162:163]
	v_lshrrev_b32_e32 v174, 29, v214
	s_waitcnt vmcnt(6)
	v_mul_f64 v[170:171], v[146:147], v[170:171]
	v_add_co_u32 v174, vcc_lo, v166, v174
	v_add_co_ci_u32_e64 v182, null, 0, v167, vcc_lo
	v_mul_f64 v[172:173], v[146:147], v[172:173]
	v_and_b32_e32 v183, -8, v174
	v_mul_f64 v[174:175], v[146:147], v[180:181]
	v_mul_f64 v[180:181], v[146:147], v[184:185]
	v_sub_co_u32 v166, vcc_lo, v166, v183
	v_sub_co_ci_u32_e64 v167, null, v167, v182, vcc_lo
	v_fma_f64 v[178:179], v[178:179], v[206:207], 0
	v_fma_f64 v[162:163], v[176:177], v[210:211], v[162:163]
	v_cmp_eq_u64_e32 vcc_lo, 1, v[166:167]
	v_cmp_eq_u64_e64 s0, 2, v[166:167]
	v_cmp_eq_u64_e64 s1, 3, v[166:167]
	;; [unrolled: 1-line block ×5, first 2 shown]
	v_cndmask_b32_e32 v176, v127, v129, vcc_lo
	v_cndmask_b32_e32 v177, v126, v128, vcc_lo
	v_cmp_eq_u64_e64 s5, 7, v[166:167]
	v_cndmask_b32_e64 v176, v176, v123, s0
	v_cndmask_b32_e64 v182, v177, v122, s0
	;; [unrolled: 1-line block ×4, first 2 shown]
	s_waitcnt vmcnt(5)
	v_mul_f64 v[176:177], v[146:147], v[186:187]
	v_fma_f64 v[178:179], v[180:181], v[208:209], v[178:179]
	s_waitcnt vmcnt(4)
	v_fma_f64 v[162:163], v[174:175], v[212:213], v[162:163]
	v_cndmask_b32_e64 v183, v183, v119, s2
	v_cndmask_b32_e64 v174, v182, v118, s2
	v_ashrrev_i32_e32 v182, 31, v169
	v_mul_f64 v[180:181], v[146:147], v[188:189]
	v_cndmask_b32_e64 v175, v183, v121, s3
	v_cndmask_b32_e64 v174, v174, v120, s3
	;; [unrolled: 1-line block ×6, first 2 shown]
	v_fma_f64 v[176:177], v[176:177], v[206:207], 0
	v_fma_f64 v[170:171], v[170:171], v[210:211], v[178:179]
	v_add_f64 v[162:163], v[174:175], -v[162:163]
	v_lshrrev_b32_e32 v174, 29, v182
	s_waitcnt vmcnt(2)
	v_mul_f64 v[178:179], v[146:147], v[194:195]
	v_add_co_u32 v174, s6, v168, v174
	v_add_co_ci_u32_e64 v182, null, 0, v169, s6
	v_cmp_eq_u64_e64 s6, 0, v[166:167]
	v_and_b32_e32 v183, -8, v174
	v_mul_f64 v[174:175], v[146:147], v[190:191]
	v_sub_co_u32 v166, s7, v168, v183
	v_sub_co_ci_u32_e64 v167, null, v169, v182, s7
	v_fma_f64 v[168:169], v[180:181], v[208:209], v[176:177]
	v_fma_f64 v[170:171], v[172:173], v[212:213], v[170:171]
	v_cndmask_b32_e64 v172, v126, v162, s6
	v_cndmask_b32_e64 v173, v127, v163, s6
	v_cmp_eq_u64_e64 s6, 1, v[166:167]
	v_cndmask_b32_e32 v129, v129, v163, vcc_lo
	v_cndmask_b32_e32 v128, v128, v162, vcc_lo
	v_cmp_eq_u64_e32 vcc_lo, 2, v[166:167]
	v_cndmask_b32_e64 v176, v122, v162, s0
	v_cndmask_b32_e64 v177, v123, v163, s0
	;; [unrolled: 1-line block ×4, first 2 shown]
	v_cmp_eq_u64_e64 s0, 3, v[166:167]
	v_cndmask_b32_e64 v180, v124, v162, s1
	v_cndmask_b32_e64 v181, v125, v163, s1
	v_cndmask_b32_e32 v122, v122, v177, vcc_lo
	v_cndmask_b32_e32 v123, v123, v176, vcc_lo
	v_cmp_eq_u64_e64 s1, 4, v[166:167]
	v_cndmask_b32_e64 v182, v118, v162, s2
	v_cndmask_b32_e64 v183, v119, v163, s2
	v_cndmask_b32_e64 v118, v122, v181, s0
	v_cndmask_b32_e64 v119, v123, v180, s0
	v_cmp_eq_u64_e64 s2, 5, v[166:167]
	v_cndmask_b32_e64 v184, v120, v162, s3
	v_cndmask_b32_e64 v185, v121, v163, s3
	v_cndmask_b32_e64 v118, v118, v183, s1
	v_cndmask_b32_e64 v119, v119, v182, s1
	;; [unrolled: 5-line block ×4, first 2 shown]
	s_waitcnt vmcnt(1)
	v_ashrrev_i32_e32 v124, 31, v199
	v_fma_f64 v[122:123], v[174:175], v[210:211], v[168:169]
	v_mul_f64 v[118:119], v[146:147], v[196:197]
	v_cndmask_b32_e64 v99, v98, v163, s4
	v_cndmask_b32_e64 v98, v100, v162, s4
	v_mul_f64 v[100:101], v[146:147], v[192:193]
	v_lshrrev_b32_e32 v124, 29, v124
	v_fma_f64 v[120:121], v[178:179], v[206:207], 0
	v_add_f64 v[98:99], v[98:99], -v[170:171]
	v_add_co_u32 v124, s5, v198, v124
	v_add_co_ci_u32_e64 v127, null, 0, v199, s5
	v_cmp_eq_u64_e64 s5, 0, v[166:167]
	v_and_b32_e32 v126, -8, v124
	s_waitcnt vmcnt(0)
	v_mul_f64 v[124:125], v[146:147], v[202:203]
	v_sub_co_u32 v126, s7, v198, v126
	v_sub_co_ci_u32_e64 v127, null, v199, v127, s7
	v_fma_f64 v[100:101], v[100:101], v[212:213], v[122:123]
	v_fma_f64 v[118:119], v[118:119], v[208:209], v[120:121]
	v_cndmask_b32_e64 v122, v172, v98, s5
	v_cndmask_b32_e64 v123, v129, v99, s6
	;; [unrolled: 1-line block ×3, first 2 shown]
	v_cmp_eq_u64_e64 s5, 1, v[126:127]
	v_cndmask_b32_e64 v128, v128, v98, s6
	v_cndmask_b32_e32 v166, v176, v98, vcc_lo
	v_cndmask_b32_e32 v167, v177, v99, vcc_lo
	v_cmp_eq_u64_e32 vcc_lo, 2, v[126:127]
	v_cndmask_b32_e64 v168, v180, v98, s0
	v_cndmask_b32_e64 v120, v129, v123, s5
	;; [unrolled: 1-line block ×4, first 2 shown]
	v_cmp_eq_u64_e64 s0, 3, v[126:127]
	v_cndmask_b32_e64 v170, v182, v98, s1
	v_cndmask_b32_e32 v120, v120, v167, vcc_lo
	v_cndmask_b32_e32 v121, v121, v166, vcc_lo
	v_cndmask_b32_e64 v171, v183, v99, s1
	v_cmp_eq_u64_e64 s1, 4, v[126:127]
	v_cndmask_b32_e64 v172, v184, v98, s2
	v_cndmask_b32_e64 v120, v120, v169, s0
	v_cndmask_b32_e64 v121, v121, v168, s0
	v_cndmask_b32_e64 v173, v185, v99, s2
	v_cmp_eq_u64_e64 s2, 5, v[126:127]
	v_cndmask_b32_e64 v174, v186, v98, s3
	v_cndmask_b32_e64 v120, v120, v171, s1
	v_cndmask_b32_e64 v121, v121, v170, s1
	;; [unrolled: 5-line block ×3, first 2 shown]
	v_cndmask_b32_e64 v163, v163, v99, s4
	v_cmp_eq_u64_e64 s4, 7, v[126:127]
	v_ashrrev_i32_e32 v176, 31, v201
	v_cndmask_b32_e64 v98, v120, v175, s3
	v_cndmask_b32_e64 v120, v121, v174, s3
	v_fma_f64 v[118:119], v[124:125], v[210:211], v[118:119]
	v_cndmask_b32_e64 v99, v98, v163, s4
	v_cndmask_b32_e64 v98, v120, v162, s4
	v_mul_f64 v[120:121], v[146:147], v[204:205]
	v_add_f64 v[98:99], v[98:99], -v[100:101]
	v_lshrrev_b32_e32 v100, 29, v176
	v_add_co_u32 v100, s6, v200, v100
	v_add_co_ci_u32_e64 v101, null, 0, v201, s6
	v_cmp_eq_u64_e64 s6, 0, v[126:127]
	v_and_b32_e32 v100, -8, v100
	v_sub_co_u32 v100, s7, v200, v100
	v_sub_co_ci_u32_e64 v101, null, v201, v101, s7
	v_fma_f64 v[118:119], v[120:121], v[212:213], v[118:119]
	v_cndmask_b32_e64 v176, v122, v98, s6
	v_cndmask_b32_e64 v178, v129, v99, s6
	v_cmp_eq_u64_e64 s6, 1, v[100:101]
	v_cndmask_b32_e64 v177, v123, v99, s5
	v_cndmask_b32_e64 v128, v128, v98, s5
	v_cndmask_b32_e32 v122, v166, v98, vcc_lo
	v_cndmask_b32_e32 v123, v167, v99, vcc_lo
	v_cmp_eq_u64_e32 vcc_lo, 2, v[100:101]
	v_cndmask_b32_e64 v120, v178, v177, s6
	v_cndmask_b32_e64 v121, v176, v128, s6
	;; [unrolled: 1-line block ×4, first 2 shown]
	v_cmp_eq_u64_e64 s0, 3, v[100:101]
	v_cndmask_b32_e32 v120, v120, v123, vcc_lo
	v_cndmask_b32_e32 v121, v121, v122, vcc_lo
	v_cndmask_b32_e64 v129, v170, v98, s1
	v_cndmask_b32_e64 v166, v171, v99, s1
	v_cmp_eq_u64_e64 s1, 4, v[100:101]
	v_cndmask_b32_e64 v120, v120, v125, s0
	v_cndmask_b32_e64 v121, v121, v124, s0
	v_cndmask_b32_e64 v167, v172, v98, s2
	v_cndmask_b32_e64 v168, v173, v99, s2
	v_cmp_eq_u64_e64 s2, 5, v[100:101]
	v_cndmask_b32_e64 v120, v120, v166, s1
	v_cndmask_b32_e64 v121, v121, v129, s1
	v_cndmask_b32_e64 v169, v174, v98, s3
	v_cndmask_b32_e64 v170, v175, v99, s3
	v_cmp_eq_u64_e64 s3, 6, v[100:101]
	v_cndmask_b32_e64 v120, v120, v168, s2
	v_cndmask_b32_e64 v121, v121, v167, s2
	v_cndmask_b32_e64 v162, v162, v98, s4
	v_cndmask_b32_e64 v163, v163, v99, s4
	v_cmp_eq_u64_e64 s4, 7, v[100:101]
	v_cndmask_b32_e64 v98, v120, v170, s3
	v_cndmask_b32_e64 v120, v121, v169, s3
	v_cmp_eq_u64_e64 s5, 0, v[100:101]
	v_cndmask_b32_e64 v99, v98, v163, s4
	v_cndmask_b32_e64 v98, v120, v162, s4
	v_add_f64 v[126:127], v[98:99], -v[118:119]
	v_cndmask_b32_e64 v101, v163, v127, s4
	v_cndmask_b32_e64 v100, v162, v126, s4
	;; [unrolled: 1-line block ×10, first 2 shown]
	v_cndmask_b32_e32 v123, v123, v127, vcc_lo
	v_cndmask_b32_e32 v122, v122, v126, vcc_lo
	v_cndmask_b32_e64 v129, v177, v127, s6
	v_cndmask_b32_e64 v128, v128, v126, s6
	;; [unrolled: 1-line block ×4, first 2 shown]
.LBB0_16:                               ;   in Loop: Header=BB0_10 Depth=2
	s_or_b32 exec_lo, exec_lo, s8
	global_load_dwordx2 v[162:163], v[158:159], off offset:24
	s_waitcnt vmcnt(0)
	v_lshlrev_b64 v[162:163], 3, v[162:163]
	v_add_co_u32 v162, vcc_lo, s22, v162
	v_add_co_ci_u32_e64 v163, null, s23, v163, vcc_lo
	global_load_dwordx2 v[166:167], v[160:161], off offset:24
	global_load_dwordx2 v[162:163], v[162:163], off
	s_waitcnt vmcnt(1)
	v_cmp_ne_u64_e32 vcc_lo, 0, v[166:167]
	s_waitcnt vmcnt(0)
	v_cmp_lt_i64_e64 s0, -1, v[162:163]
	s_and_b32 s0, s0, vcc_lo
	s_and_saveexec_b32 s8, s0
	s_cbranch_execz .LBB0_18
; %bb.17:                               ;   in Loop: Header=BB0_10 Depth=2
	v_lshlrev_b64 v[178:179], 5, v[162:163]
	v_lshlrev_b64 v[162:163], 8, v[162:163]
	v_add_co_u32 v166, vcc_lo, s12, v178
	v_add_co_ci_u32_e64 v167, null, s13, v179, vcc_lo
	global_load_dwordx2 v[166:167], v[166:167], off
	s_waitcnt vmcnt(0)
	v_ashrrev_i32_e32 v168, 31, v167
	v_lshrrev_b32_e32 v168, 29, v168
	v_add_co_u32 v166, vcc_lo, v166, v168
	v_add_co_ci_u32_e64 v167, null, 0, v167, vcc_lo
	v_mov_b32_e32 v168, s13
	v_ashrrev_i64 v[166:167], 3, v[166:167]
	v_cmp_eq_u64_e32 vcc_lo, v[154:155], v[166:167]
	v_mov_b32_e32 v166, s14
	v_mov_b32_e32 v167, s15
	v_cndmask_b32_e32 v166, s12, v166, vcc_lo
	v_cndmask_b32_e32 v167, s13, v167, vcc_lo
	;; [unrolled: 1-line block ×3, first 2 shown]
	v_cndmask_b32_e64 v174, 0, 0x80, vcc_lo
	v_add_co_u32 v170, s0, v166, v178
	v_add_co_ci_u32_e64 v171, null, v167, v179, s0
	v_add_co_u32 v174, s0, s40, v174
	v_add_co_ci_u32_e64 v175, null, s41, 0, s0
	s_clause 0x1
	global_load_dwordx4 v[166:169], v[170:171], off
	global_load_dwordx4 v[170:173], v[170:171], off offset:16
	v_add_co_u32 v162, s0, v174, v162
	v_add_co_ci_u32_e64 v163, null, v175, v163, s0
	v_add_co_u32 v162, s0, v162, s24
	v_add_co_ci_u32_e64 v163, null, s25, v163, s0
	global_load_dwordx4 v[174:177], v[162:163], off
	s_waitcnt vmcnt(2)
	v_lshlrev_b64 v[166:167], 3, v[166:167]
	s_waitcnt vmcnt(1)
	v_lshlrev_b64 v[170:171], 3, v[170:171]
	v_lshlrev_b64 v[190:191], 3, v[172:173]
	v_add_co_u32 v166, s0, s37, v166
	v_add_co_ci_u32_e64 v167, null, s38, v167, s0
	global_load_dwordx2 v[206:207], v[166:167], off
	v_mov_b32_e32 v166, s12
	v_cndmask_b32_e32 v181, s14, v166, vcc_lo
	v_lshlrev_b64 v[166:167], 3, v[168:169]
	v_add_co_u32 v198, vcc_lo, v181, v178
	v_add_co_ci_u32_e64 v199, null, v180, v179, vcc_lo
	v_add_co_u32 v186, vcc_lo, s37, v166
	v_add_co_ci_u32_e64 v187, null, s38, v167, vcc_lo
	global_load_dwordx4 v[166:169], v[198:199], off
	s_clause 0x1
	global_load_dwordx4 v[178:181], v[162:163], off offset:16
	global_load_dwordx4 v[182:185], v[162:163], off offset:32
	global_load_dwordx2 v[208:209], v[186:187], off
	v_add_co_u32 v170, vcc_lo, s37, v170
	v_add_co_ci_u32_e64 v171, null, s38, v171, vcc_lo
	v_add_co_u32 v190, vcc_lo, s37, v190
	v_add_co_ci_u32_e64 v191, null, s38, v191, vcc_lo
	global_load_dwordx2 v[210:211], v[170:171], off
	s_clause 0x1
	global_load_dwordx4 v[170:173], v[162:163], off offset:48
	global_load_dwordx4 v[186:189], v[162:163], off offset:64
	global_load_dwordx2 v[212:213], v[190:191], off
	s_clause 0x1
	global_load_dwordx4 v[190:193], v[162:163], off offset:80
	global_load_dwordx4 v[194:197], v[162:163], off offset:96
	;; [unrolled: 1-line block ×4, first 2 shown]
	s_waitcnt vmcnt(13)
	v_mul_f64 v[162:163], v[146:147], v[174:175]
	v_mul_f64 v[174:175], v[146:147], v[176:177]
	s_waitcnt vmcnt(12)
	v_fma_f64 v[162:163], v[162:163], v[206:207], 0
	s_waitcnt vmcnt(11)
	v_ashrrev_i32_e32 v214, 31, v167
	s_waitcnt vmcnt(10)
	v_mul_f64 v[176:177], v[146:147], v[178:179]
	s_waitcnt vmcnt(9)
	v_mul_f64 v[178:179], v[146:147], v[182:183]
	s_waitcnt vmcnt(8)
	v_fma_f64 v[162:163], v[174:175], v[208:209], v[162:163]
	v_lshrrev_b32_e32 v174, 29, v214
	s_waitcnt vmcnt(6)
	v_mul_f64 v[170:171], v[146:147], v[170:171]
	v_add_co_u32 v174, vcc_lo, v166, v174
	v_add_co_ci_u32_e64 v182, null, 0, v167, vcc_lo
	v_mul_f64 v[172:173], v[146:147], v[172:173]
	v_and_b32_e32 v183, -8, v174
	v_mul_f64 v[174:175], v[146:147], v[180:181]
	v_mul_f64 v[180:181], v[146:147], v[184:185]
	v_sub_co_u32 v166, vcc_lo, v166, v183
	v_sub_co_ci_u32_e64 v167, null, v167, v182, vcc_lo
	v_fma_f64 v[178:179], v[178:179], v[206:207], 0
	v_fma_f64 v[162:163], v[176:177], v[210:211], v[162:163]
	v_cmp_eq_u64_e32 vcc_lo, 1, v[166:167]
	v_cmp_eq_u64_e64 s0, 2, v[166:167]
	v_cmp_eq_u64_e64 s1, 3, v[166:167]
	;; [unrolled: 1-line block ×5, first 2 shown]
	v_cndmask_b32_e32 v176, v127, v129, vcc_lo
	v_cndmask_b32_e32 v177, v126, v128, vcc_lo
	v_cmp_eq_u64_e64 s5, 7, v[166:167]
	v_cndmask_b32_e64 v176, v176, v123, s0
	v_cndmask_b32_e64 v182, v177, v122, s0
	;; [unrolled: 1-line block ×4, first 2 shown]
	s_waitcnt vmcnt(5)
	v_mul_f64 v[176:177], v[146:147], v[186:187]
	v_fma_f64 v[178:179], v[180:181], v[208:209], v[178:179]
	s_waitcnt vmcnt(4)
	v_fma_f64 v[162:163], v[174:175], v[212:213], v[162:163]
	v_cndmask_b32_e64 v183, v183, v119, s2
	v_cndmask_b32_e64 v174, v182, v118, s2
	v_ashrrev_i32_e32 v182, 31, v169
	v_mul_f64 v[180:181], v[146:147], v[188:189]
	v_cndmask_b32_e64 v175, v183, v121, s3
	v_cndmask_b32_e64 v174, v174, v120, s3
	;; [unrolled: 1-line block ×6, first 2 shown]
	v_fma_f64 v[176:177], v[176:177], v[206:207], 0
	v_fma_f64 v[170:171], v[170:171], v[210:211], v[178:179]
	v_add_f64 v[162:163], v[174:175], -v[162:163]
	v_lshrrev_b32_e32 v174, 29, v182
	s_waitcnt vmcnt(2)
	v_mul_f64 v[178:179], v[146:147], v[194:195]
	v_add_co_u32 v174, s6, v168, v174
	v_add_co_ci_u32_e64 v182, null, 0, v169, s6
	v_cmp_eq_u64_e64 s6, 0, v[166:167]
	v_and_b32_e32 v183, -8, v174
	v_mul_f64 v[174:175], v[146:147], v[190:191]
	v_sub_co_u32 v166, s7, v168, v183
	v_sub_co_ci_u32_e64 v167, null, v169, v182, s7
	v_fma_f64 v[168:169], v[180:181], v[208:209], v[176:177]
	v_fma_f64 v[170:171], v[172:173], v[212:213], v[170:171]
	v_cndmask_b32_e64 v172, v126, v162, s6
	v_cndmask_b32_e64 v173, v127, v163, s6
	v_cmp_eq_u64_e64 s6, 1, v[166:167]
	v_cndmask_b32_e32 v129, v129, v163, vcc_lo
	v_cndmask_b32_e32 v128, v128, v162, vcc_lo
	v_cmp_eq_u64_e32 vcc_lo, 2, v[166:167]
	v_cndmask_b32_e64 v176, v122, v162, s0
	v_cndmask_b32_e64 v177, v123, v163, s0
	;; [unrolled: 1-line block ×4, first 2 shown]
	v_cmp_eq_u64_e64 s0, 3, v[166:167]
	v_cndmask_b32_e64 v180, v124, v162, s1
	v_cndmask_b32_e64 v181, v125, v163, s1
	v_cndmask_b32_e32 v122, v122, v177, vcc_lo
	v_cndmask_b32_e32 v123, v123, v176, vcc_lo
	v_cmp_eq_u64_e64 s1, 4, v[166:167]
	v_cndmask_b32_e64 v182, v118, v162, s2
	v_cndmask_b32_e64 v183, v119, v163, s2
	v_cndmask_b32_e64 v118, v122, v181, s0
	v_cndmask_b32_e64 v119, v123, v180, s0
	v_cmp_eq_u64_e64 s2, 5, v[166:167]
	v_cndmask_b32_e64 v184, v120, v162, s3
	v_cndmask_b32_e64 v185, v121, v163, s3
	v_cndmask_b32_e64 v118, v118, v183, s1
	v_cndmask_b32_e64 v119, v119, v182, s1
	;; [unrolled: 5-line block ×4, first 2 shown]
	s_waitcnt vmcnt(1)
	v_ashrrev_i32_e32 v124, 31, v199
	v_fma_f64 v[122:123], v[174:175], v[210:211], v[168:169]
	v_mul_f64 v[118:119], v[146:147], v[196:197]
	v_cndmask_b32_e64 v99, v98, v163, s4
	v_cndmask_b32_e64 v98, v100, v162, s4
	v_mul_f64 v[100:101], v[146:147], v[192:193]
	v_lshrrev_b32_e32 v124, 29, v124
	v_fma_f64 v[120:121], v[178:179], v[206:207], 0
	v_add_f64 v[98:99], v[98:99], -v[170:171]
	v_add_co_u32 v124, s5, v198, v124
	v_add_co_ci_u32_e64 v127, null, 0, v199, s5
	v_cmp_eq_u64_e64 s5, 0, v[166:167]
	v_and_b32_e32 v126, -8, v124
	s_waitcnt vmcnt(0)
	v_mul_f64 v[124:125], v[146:147], v[202:203]
	v_sub_co_u32 v126, s7, v198, v126
	v_sub_co_ci_u32_e64 v127, null, v199, v127, s7
	v_fma_f64 v[100:101], v[100:101], v[212:213], v[122:123]
	v_fma_f64 v[118:119], v[118:119], v[208:209], v[120:121]
	v_cndmask_b32_e64 v122, v172, v98, s5
	v_cndmask_b32_e64 v123, v129, v99, s6
	;; [unrolled: 1-line block ×3, first 2 shown]
	v_cmp_eq_u64_e64 s5, 1, v[126:127]
	v_cndmask_b32_e64 v128, v128, v98, s6
	v_cndmask_b32_e32 v166, v176, v98, vcc_lo
	v_cndmask_b32_e32 v167, v177, v99, vcc_lo
	v_cmp_eq_u64_e32 vcc_lo, 2, v[126:127]
	v_cndmask_b32_e64 v168, v180, v98, s0
	v_cndmask_b32_e64 v120, v129, v123, s5
	;; [unrolled: 1-line block ×4, first 2 shown]
	v_cmp_eq_u64_e64 s0, 3, v[126:127]
	v_cndmask_b32_e64 v170, v182, v98, s1
	v_cndmask_b32_e32 v120, v120, v167, vcc_lo
	v_cndmask_b32_e32 v121, v121, v166, vcc_lo
	v_cndmask_b32_e64 v171, v183, v99, s1
	v_cmp_eq_u64_e64 s1, 4, v[126:127]
	v_cndmask_b32_e64 v172, v184, v98, s2
	v_cndmask_b32_e64 v120, v120, v169, s0
	v_cndmask_b32_e64 v121, v121, v168, s0
	v_cndmask_b32_e64 v173, v185, v99, s2
	v_cmp_eq_u64_e64 s2, 5, v[126:127]
	v_cndmask_b32_e64 v174, v186, v98, s3
	v_cndmask_b32_e64 v120, v120, v171, s1
	v_cndmask_b32_e64 v121, v121, v170, s1
	;; [unrolled: 5-line block ×3, first 2 shown]
	v_cndmask_b32_e64 v163, v163, v99, s4
	v_cmp_eq_u64_e64 s4, 7, v[126:127]
	v_ashrrev_i32_e32 v176, 31, v201
	v_cndmask_b32_e64 v98, v120, v175, s3
	v_cndmask_b32_e64 v120, v121, v174, s3
	v_fma_f64 v[118:119], v[124:125], v[210:211], v[118:119]
	v_cndmask_b32_e64 v99, v98, v163, s4
	v_cndmask_b32_e64 v98, v120, v162, s4
	v_mul_f64 v[120:121], v[146:147], v[204:205]
	v_add_f64 v[98:99], v[98:99], -v[100:101]
	v_lshrrev_b32_e32 v100, 29, v176
	v_add_co_u32 v100, s6, v200, v100
	v_add_co_ci_u32_e64 v101, null, 0, v201, s6
	v_cmp_eq_u64_e64 s6, 0, v[126:127]
	v_and_b32_e32 v100, -8, v100
	v_sub_co_u32 v100, s7, v200, v100
	v_sub_co_ci_u32_e64 v101, null, v201, v101, s7
	v_fma_f64 v[118:119], v[120:121], v[212:213], v[118:119]
	v_cndmask_b32_e64 v176, v122, v98, s6
	v_cndmask_b32_e64 v178, v129, v99, s6
	v_cmp_eq_u64_e64 s6, 1, v[100:101]
	v_cndmask_b32_e64 v177, v123, v99, s5
	v_cndmask_b32_e64 v128, v128, v98, s5
	v_cndmask_b32_e32 v122, v166, v98, vcc_lo
	v_cndmask_b32_e32 v123, v167, v99, vcc_lo
	v_cmp_eq_u64_e32 vcc_lo, 2, v[100:101]
	v_cndmask_b32_e64 v120, v178, v177, s6
	v_cndmask_b32_e64 v121, v176, v128, s6
	;; [unrolled: 1-line block ×4, first 2 shown]
	v_cmp_eq_u64_e64 s0, 3, v[100:101]
	v_cndmask_b32_e32 v120, v120, v123, vcc_lo
	v_cndmask_b32_e32 v121, v121, v122, vcc_lo
	v_cndmask_b32_e64 v129, v170, v98, s1
	v_cndmask_b32_e64 v166, v171, v99, s1
	v_cmp_eq_u64_e64 s1, 4, v[100:101]
	v_cndmask_b32_e64 v120, v120, v125, s0
	v_cndmask_b32_e64 v121, v121, v124, s0
	v_cndmask_b32_e64 v167, v172, v98, s2
	v_cndmask_b32_e64 v168, v173, v99, s2
	v_cmp_eq_u64_e64 s2, 5, v[100:101]
	v_cndmask_b32_e64 v120, v120, v166, s1
	v_cndmask_b32_e64 v121, v121, v129, s1
	;; [unrolled: 5-line block ×4, first 2 shown]
	v_cmp_eq_u64_e64 s5, 0, v[100:101]
	v_cndmask_b32_e64 v99, v98, v163, s4
	v_cndmask_b32_e64 v98, v120, v162, s4
	v_add_f64 v[126:127], v[98:99], -v[118:119]
	v_cndmask_b32_e64 v101, v163, v127, s4
	v_cndmask_b32_e64 v100, v162, v126, s4
	v_cndmask_b32_e64 v99, v170, v127, s3
	v_cndmask_b32_e64 v98, v169, v126, s3
	v_cndmask_b32_e64 v121, v168, v127, s2
	v_cndmask_b32_e64 v120, v167, v126, s2
	v_cndmask_b32_e64 v119, v166, v127, s1
	v_cndmask_b32_e64 v118, v129, v126, s1
	v_cndmask_b32_e64 v125, v125, v127, s0
	v_cndmask_b32_e64 v124, v124, v126, s0
	v_cndmask_b32_e32 v123, v123, v127, vcc_lo
	v_cndmask_b32_e32 v122, v122, v126, vcc_lo
	v_cndmask_b32_e64 v129, v177, v127, s6
	v_cndmask_b32_e64 v128, v128, v126, s6
	;; [unrolled: 1-line block ×4, first 2 shown]
.LBB0_18:                               ;   in Loop: Header=BB0_10 Depth=2
	s_or_b32 exec_lo, exec_lo, s8
	global_load_dwordx2 v[162:163], v[158:159], off offset:32
	s_waitcnt vmcnt(0)
	v_lshlrev_b64 v[162:163], 3, v[162:163]
	v_add_co_u32 v162, vcc_lo, s22, v162
	v_add_co_ci_u32_e64 v163, null, s23, v163, vcc_lo
	global_load_dwordx2 v[166:167], v[160:161], off offset:32
	global_load_dwordx2 v[162:163], v[162:163], off
	s_waitcnt vmcnt(1)
	v_cmp_ne_u64_e32 vcc_lo, 0, v[166:167]
	s_waitcnt vmcnt(0)
	v_cmp_lt_i64_e64 s0, -1, v[162:163]
	s_and_b32 s0, s0, vcc_lo
	s_and_saveexec_b32 s8, s0
	s_cbranch_execz .LBB0_20
; %bb.19:                               ;   in Loop: Header=BB0_10 Depth=2
	v_lshlrev_b64 v[178:179], 5, v[162:163]
	v_lshlrev_b64 v[162:163], 8, v[162:163]
	v_add_co_u32 v166, vcc_lo, s12, v178
	v_add_co_ci_u32_e64 v167, null, s13, v179, vcc_lo
	global_load_dwordx2 v[166:167], v[166:167], off
	s_waitcnt vmcnt(0)
	v_ashrrev_i32_e32 v168, 31, v167
	v_lshrrev_b32_e32 v168, 29, v168
	v_add_co_u32 v166, vcc_lo, v166, v168
	v_add_co_ci_u32_e64 v167, null, 0, v167, vcc_lo
	v_mov_b32_e32 v168, s13
	v_ashrrev_i64 v[166:167], 3, v[166:167]
	v_cmp_eq_u64_e32 vcc_lo, v[154:155], v[166:167]
	v_mov_b32_e32 v166, s14
	v_mov_b32_e32 v167, s15
	v_cndmask_b32_e32 v166, s12, v166, vcc_lo
	v_cndmask_b32_e32 v167, s13, v167, vcc_lo
	;; [unrolled: 1-line block ×3, first 2 shown]
	v_cndmask_b32_e64 v174, 0, 0x80, vcc_lo
	v_add_co_u32 v170, s0, v166, v178
	v_add_co_ci_u32_e64 v171, null, v167, v179, s0
	v_add_co_u32 v174, s0, s40, v174
	v_add_co_ci_u32_e64 v175, null, s41, 0, s0
	s_clause 0x1
	global_load_dwordx4 v[166:169], v[170:171], off
	global_load_dwordx4 v[170:173], v[170:171], off offset:16
	v_add_co_u32 v162, s0, v174, v162
	v_add_co_ci_u32_e64 v163, null, v175, v163, s0
	v_add_co_u32 v162, s0, v162, s24
	v_add_co_ci_u32_e64 v163, null, s25, v163, s0
	global_load_dwordx4 v[174:177], v[162:163], off
	s_waitcnt vmcnt(2)
	v_lshlrev_b64 v[166:167], 3, v[166:167]
	s_waitcnt vmcnt(1)
	v_lshlrev_b64 v[170:171], 3, v[170:171]
	v_lshlrev_b64 v[190:191], 3, v[172:173]
	v_add_co_u32 v166, s0, s37, v166
	v_add_co_ci_u32_e64 v167, null, s38, v167, s0
	global_load_dwordx2 v[206:207], v[166:167], off
	v_mov_b32_e32 v166, s12
	v_cndmask_b32_e32 v181, s14, v166, vcc_lo
	v_lshlrev_b64 v[166:167], 3, v[168:169]
	v_add_co_u32 v198, vcc_lo, v181, v178
	v_add_co_ci_u32_e64 v199, null, v180, v179, vcc_lo
	v_add_co_u32 v186, vcc_lo, s37, v166
	v_add_co_ci_u32_e64 v187, null, s38, v167, vcc_lo
	global_load_dwordx4 v[166:169], v[198:199], off
	s_clause 0x1
	global_load_dwordx4 v[178:181], v[162:163], off offset:16
	global_load_dwordx4 v[182:185], v[162:163], off offset:32
	global_load_dwordx2 v[208:209], v[186:187], off
	v_add_co_u32 v170, vcc_lo, s37, v170
	v_add_co_ci_u32_e64 v171, null, s38, v171, vcc_lo
	v_add_co_u32 v190, vcc_lo, s37, v190
	v_add_co_ci_u32_e64 v191, null, s38, v191, vcc_lo
	global_load_dwordx2 v[210:211], v[170:171], off
	s_clause 0x1
	global_load_dwordx4 v[170:173], v[162:163], off offset:48
	global_load_dwordx4 v[186:189], v[162:163], off offset:64
	global_load_dwordx2 v[212:213], v[190:191], off
	s_clause 0x1
	global_load_dwordx4 v[190:193], v[162:163], off offset:80
	global_load_dwordx4 v[194:197], v[162:163], off offset:96
	;; [unrolled: 1-line block ×4, first 2 shown]
	s_waitcnt vmcnt(13)
	v_mul_f64 v[162:163], v[146:147], v[174:175]
	v_mul_f64 v[174:175], v[146:147], v[176:177]
	s_waitcnt vmcnt(12)
	v_fma_f64 v[162:163], v[162:163], v[206:207], 0
	s_waitcnt vmcnt(11)
	v_ashrrev_i32_e32 v214, 31, v167
	s_waitcnt vmcnt(10)
	v_mul_f64 v[176:177], v[146:147], v[178:179]
	s_waitcnt vmcnt(9)
	v_mul_f64 v[178:179], v[146:147], v[182:183]
	s_waitcnt vmcnt(8)
	v_fma_f64 v[162:163], v[174:175], v[208:209], v[162:163]
	v_lshrrev_b32_e32 v174, 29, v214
	s_waitcnt vmcnt(6)
	v_mul_f64 v[170:171], v[146:147], v[170:171]
	v_add_co_u32 v174, vcc_lo, v166, v174
	v_add_co_ci_u32_e64 v182, null, 0, v167, vcc_lo
	v_mul_f64 v[172:173], v[146:147], v[172:173]
	v_and_b32_e32 v183, -8, v174
	v_mul_f64 v[174:175], v[146:147], v[180:181]
	v_mul_f64 v[180:181], v[146:147], v[184:185]
	v_sub_co_u32 v166, vcc_lo, v166, v183
	v_sub_co_ci_u32_e64 v167, null, v167, v182, vcc_lo
	v_fma_f64 v[178:179], v[178:179], v[206:207], 0
	v_fma_f64 v[162:163], v[176:177], v[210:211], v[162:163]
	v_cmp_eq_u64_e32 vcc_lo, 1, v[166:167]
	v_cmp_eq_u64_e64 s0, 2, v[166:167]
	v_cmp_eq_u64_e64 s1, 3, v[166:167]
	;; [unrolled: 1-line block ×5, first 2 shown]
	v_cndmask_b32_e32 v176, v127, v129, vcc_lo
	v_cndmask_b32_e32 v177, v126, v128, vcc_lo
	v_cmp_eq_u64_e64 s5, 7, v[166:167]
	v_cndmask_b32_e64 v176, v176, v123, s0
	v_cndmask_b32_e64 v182, v177, v122, s0
	;; [unrolled: 1-line block ×4, first 2 shown]
	s_waitcnt vmcnt(5)
	v_mul_f64 v[176:177], v[146:147], v[186:187]
	v_fma_f64 v[178:179], v[180:181], v[208:209], v[178:179]
	s_waitcnt vmcnt(4)
	v_fma_f64 v[162:163], v[174:175], v[212:213], v[162:163]
	v_cndmask_b32_e64 v183, v183, v119, s2
	v_cndmask_b32_e64 v174, v182, v118, s2
	v_ashrrev_i32_e32 v182, 31, v169
	v_mul_f64 v[180:181], v[146:147], v[188:189]
	v_cndmask_b32_e64 v175, v183, v121, s3
	v_cndmask_b32_e64 v174, v174, v120, s3
	;; [unrolled: 1-line block ×6, first 2 shown]
	v_fma_f64 v[176:177], v[176:177], v[206:207], 0
	v_fma_f64 v[170:171], v[170:171], v[210:211], v[178:179]
	v_add_f64 v[162:163], v[174:175], -v[162:163]
	v_lshrrev_b32_e32 v174, 29, v182
	s_waitcnt vmcnt(2)
	v_mul_f64 v[178:179], v[146:147], v[194:195]
	v_add_co_u32 v174, s6, v168, v174
	v_add_co_ci_u32_e64 v182, null, 0, v169, s6
	v_cmp_eq_u64_e64 s6, 0, v[166:167]
	v_and_b32_e32 v183, -8, v174
	v_mul_f64 v[174:175], v[146:147], v[190:191]
	v_sub_co_u32 v166, s7, v168, v183
	v_sub_co_ci_u32_e64 v167, null, v169, v182, s7
	v_fma_f64 v[168:169], v[180:181], v[208:209], v[176:177]
	v_fma_f64 v[170:171], v[172:173], v[212:213], v[170:171]
	v_cndmask_b32_e64 v172, v126, v162, s6
	v_cndmask_b32_e64 v173, v127, v163, s6
	v_cmp_eq_u64_e64 s6, 1, v[166:167]
	v_cndmask_b32_e32 v129, v129, v163, vcc_lo
	v_cndmask_b32_e32 v128, v128, v162, vcc_lo
	v_cmp_eq_u64_e32 vcc_lo, 2, v[166:167]
	v_cndmask_b32_e64 v176, v122, v162, s0
	v_cndmask_b32_e64 v177, v123, v163, s0
	;; [unrolled: 1-line block ×4, first 2 shown]
	v_cmp_eq_u64_e64 s0, 3, v[166:167]
	v_cndmask_b32_e64 v180, v124, v162, s1
	v_cndmask_b32_e64 v181, v125, v163, s1
	v_cndmask_b32_e32 v122, v122, v177, vcc_lo
	v_cndmask_b32_e32 v123, v123, v176, vcc_lo
	v_cmp_eq_u64_e64 s1, 4, v[166:167]
	v_cndmask_b32_e64 v182, v118, v162, s2
	v_cndmask_b32_e64 v183, v119, v163, s2
	v_cndmask_b32_e64 v118, v122, v181, s0
	v_cndmask_b32_e64 v119, v123, v180, s0
	v_cmp_eq_u64_e64 s2, 5, v[166:167]
	v_cndmask_b32_e64 v184, v120, v162, s3
	v_cndmask_b32_e64 v185, v121, v163, s3
	v_cndmask_b32_e64 v118, v118, v183, s1
	v_cndmask_b32_e64 v119, v119, v182, s1
	;; [unrolled: 5-line block ×4, first 2 shown]
	s_waitcnt vmcnt(1)
	v_ashrrev_i32_e32 v124, 31, v199
	v_fma_f64 v[122:123], v[174:175], v[210:211], v[168:169]
	v_mul_f64 v[118:119], v[146:147], v[196:197]
	v_cndmask_b32_e64 v99, v98, v163, s4
	v_cndmask_b32_e64 v98, v100, v162, s4
	v_mul_f64 v[100:101], v[146:147], v[192:193]
	v_lshrrev_b32_e32 v124, 29, v124
	v_fma_f64 v[120:121], v[178:179], v[206:207], 0
	v_add_f64 v[98:99], v[98:99], -v[170:171]
	v_add_co_u32 v124, s5, v198, v124
	v_add_co_ci_u32_e64 v127, null, 0, v199, s5
	v_cmp_eq_u64_e64 s5, 0, v[166:167]
	v_and_b32_e32 v126, -8, v124
	s_waitcnt vmcnt(0)
	v_mul_f64 v[124:125], v[146:147], v[202:203]
	v_sub_co_u32 v126, s7, v198, v126
	v_sub_co_ci_u32_e64 v127, null, v199, v127, s7
	v_fma_f64 v[100:101], v[100:101], v[212:213], v[122:123]
	v_fma_f64 v[118:119], v[118:119], v[208:209], v[120:121]
	v_cndmask_b32_e64 v122, v172, v98, s5
	v_cndmask_b32_e64 v123, v129, v99, s6
	;; [unrolled: 1-line block ×3, first 2 shown]
	v_cmp_eq_u64_e64 s5, 1, v[126:127]
	v_cndmask_b32_e64 v128, v128, v98, s6
	v_cndmask_b32_e32 v166, v176, v98, vcc_lo
	v_cndmask_b32_e32 v167, v177, v99, vcc_lo
	v_cmp_eq_u64_e32 vcc_lo, 2, v[126:127]
	v_cndmask_b32_e64 v168, v180, v98, s0
	v_cndmask_b32_e64 v120, v129, v123, s5
	;; [unrolled: 1-line block ×4, first 2 shown]
	v_cmp_eq_u64_e64 s0, 3, v[126:127]
	v_cndmask_b32_e64 v170, v182, v98, s1
	v_cndmask_b32_e32 v120, v120, v167, vcc_lo
	v_cndmask_b32_e32 v121, v121, v166, vcc_lo
	v_cndmask_b32_e64 v171, v183, v99, s1
	v_cmp_eq_u64_e64 s1, 4, v[126:127]
	v_cndmask_b32_e64 v172, v184, v98, s2
	v_cndmask_b32_e64 v120, v120, v169, s0
	v_cndmask_b32_e64 v121, v121, v168, s0
	v_cndmask_b32_e64 v173, v185, v99, s2
	v_cmp_eq_u64_e64 s2, 5, v[126:127]
	v_cndmask_b32_e64 v174, v186, v98, s3
	v_cndmask_b32_e64 v120, v120, v171, s1
	v_cndmask_b32_e64 v121, v121, v170, s1
	;; [unrolled: 5-line block ×3, first 2 shown]
	v_cndmask_b32_e64 v163, v163, v99, s4
	v_cmp_eq_u64_e64 s4, 7, v[126:127]
	v_ashrrev_i32_e32 v176, 31, v201
	v_cndmask_b32_e64 v98, v120, v175, s3
	v_cndmask_b32_e64 v120, v121, v174, s3
	v_fma_f64 v[118:119], v[124:125], v[210:211], v[118:119]
	v_cndmask_b32_e64 v99, v98, v163, s4
	v_cndmask_b32_e64 v98, v120, v162, s4
	v_mul_f64 v[120:121], v[146:147], v[204:205]
	v_add_f64 v[98:99], v[98:99], -v[100:101]
	v_lshrrev_b32_e32 v100, 29, v176
	v_add_co_u32 v100, s6, v200, v100
	v_add_co_ci_u32_e64 v101, null, 0, v201, s6
	v_cmp_eq_u64_e64 s6, 0, v[126:127]
	v_and_b32_e32 v100, -8, v100
	v_sub_co_u32 v100, s7, v200, v100
	v_sub_co_ci_u32_e64 v101, null, v201, v101, s7
	v_fma_f64 v[118:119], v[120:121], v[212:213], v[118:119]
	v_cndmask_b32_e64 v176, v122, v98, s6
	v_cndmask_b32_e64 v178, v129, v99, s6
	v_cmp_eq_u64_e64 s6, 1, v[100:101]
	v_cndmask_b32_e64 v177, v123, v99, s5
	v_cndmask_b32_e64 v128, v128, v98, s5
	v_cndmask_b32_e32 v122, v166, v98, vcc_lo
	v_cndmask_b32_e32 v123, v167, v99, vcc_lo
	v_cmp_eq_u64_e32 vcc_lo, 2, v[100:101]
	v_cndmask_b32_e64 v120, v178, v177, s6
	v_cndmask_b32_e64 v121, v176, v128, s6
	v_cndmask_b32_e64 v124, v168, v98, s0
	v_cndmask_b32_e64 v125, v169, v99, s0
	v_cmp_eq_u64_e64 s0, 3, v[100:101]
	v_cndmask_b32_e32 v120, v120, v123, vcc_lo
	v_cndmask_b32_e32 v121, v121, v122, vcc_lo
	v_cndmask_b32_e64 v129, v170, v98, s1
	v_cndmask_b32_e64 v166, v171, v99, s1
	v_cmp_eq_u64_e64 s1, 4, v[100:101]
	v_cndmask_b32_e64 v120, v120, v125, s0
	v_cndmask_b32_e64 v121, v121, v124, s0
	v_cndmask_b32_e64 v167, v172, v98, s2
	v_cndmask_b32_e64 v168, v173, v99, s2
	v_cmp_eq_u64_e64 s2, 5, v[100:101]
	v_cndmask_b32_e64 v120, v120, v166, s1
	v_cndmask_b32_e64 v121, v121, v129, s1
	;; [unrolled: 5-line block ×4, first 2 shown]
	v_cmp_eq_u64_e64 s5, 0, v[100:101]
	v_cndmask_b32_e64 v99, v98, v163, s4
	v_cndmask_b32_e64 v98, v120, v162, s4
	v_add_f64 v[126:127], v[98:99], -v[118:119]
	v_cndmask_b32_e64 v101, v163, v127, s4
	v_cndmask_b32_e64 v100, v162, v126, s4
	;; [unrolled: 1-line block ×10, first 2 shown]
	v_cndmask_b32_e32 v123, v123, v127, vcc_lo
	v_cndmask_b32_e32 v122, v122, v126, vcc_lo
	v_cndmask_b32_e64 v129, v177, v127, s6
	v_cndmask_b32_e64 v128, v128, v126, s6
	;; [unrolled: 1-line block ×4, first 2 shown]
.LBB0_20:                               ;   in Loop: Header=BB0_10 Depth=2
	s_or_b32 exec_lo, exec_lo, s8
	global_load_dwordx2 v[158:159], v[158:159], off offset:40
	s_waitcnt vmcnt(0)
	v_lshlrev_b64 v[158:159], 3, v[158:159]
	v_add_co_u32 v158, vcc_lo, s22, v158
	v_add_co_ci_u32_e64 v159, null, s23, v159, vcc_lo
	global_load_dwordx2 v[160:161], v[160:161], off offset:40
	global_load_dwordx2 v[158:159], v[158:159], off
	s_waitcnt vmcnt(1)
	v_cmp_ne_u64_e32 vcc_lo, 0, v[160:161]
	s_waitcnt vmcnt(0)
	v_cmp_lt_i64_e64 s0, -1, v[158:159]
	s_and_b32 s0, s0, vcc_lo
	s_and_saveexec_b32 s8, s0
	s_cbranch_execz .LBB0_9
; %bb.21:                               ;   in Loop: Header=BB0_10 Depth=2
	v_lshlrev_b64 v[174:175], 5, v[158:159]
	v_lshlrev_b64 v[158:159], 8, v[158:159]
	v_add_co_u32 v160, vcc_lo, s12, v174
	v_add_co_ci_u32_e64 v161, null, s13, v175, vcc_lo
	global_load_dwordx2 v[160:161], v[160:161], off
	s_waitcnt vmcnt(0)
	v_ashrrev_i32_e32 v162, 31, v161
	v_lshrrev_b32_e32 v162, 29, v162
	v_add_co_u32 v160, vcc_lo, v160, v162
	v_add_co_ci_u32_e64 v161, null, 0, v161, vcc_lo
	v_mov_b32_e32 v162, s13
	v_ashrrev_i64 v[160:161], 3, v[160:161]
	v_cmp_eq_u64_e32 vcc_lo, v[154:155], v[160:161]
	v_mov_b32_e32 v160, s14
	v_mov_b32_e32 v161, s15
	v_cndmask_b32_e32 v160, s12, v160, vcc_lo
	v_cndmask_b32_e32 v161, s13, v161, vcc_lo
	;; [unrolled: 1-line block ×3, first 2 shown]
	v_cndmask_b32_e64 v170, 0, 0x80, vcc_lo
	v_add_co_u32 v166, s0, v160, v174
	v_add_co_ci_u32_e64 v167, null, v161, v175, s0
	v_add_co_u32 v170, s0, s40, v170
	v_add_co_ci_u32_e64 v171, null, s41, 0, s0
	s_clause 0x1
	global_load_dwordx4 v[160:163], v[166:167], off
	global_load_dwordx4 v[166:169], v[166:167], off offset:16
	v_add_co_u32 v158, s0, v170, v158
	v_add_co_ci_u32_e64 v159, null, v171, v159, s0
	v_add_co_u32 v198, s0, v158, s24
	v_add_co_ci_u32_e64 v199, null, s25, v159, s0
	global_load_dwordx4 v[170:173], v[198:199], off
	s_waitcnt vmcnt(2)
	v_lshlrev_b64 v[158:159], 3, v[160:161]
	s_waitcnt vmcnt(1)
	v_lshlrev_b64 v[166:167], 3, v[166:167]
	v_lshlrev_b64 v[186:187], 3, v[168:169]
	v_add_co_u32 v158, s0, s37, v158
	v_add_co_ci_u32_e64 v159, null, s38, v159, s0
	global_load_dwordx2 v[202:203], v[158:159], off
	v_mov_b32_e32 v158, s12
	v_cndmask_b32_e32 v160, s14, v158, vcc_lo
	v_lshlrev_b64 v[158:159], 3, v[162:163]
	v_add_co_u32 v162, vcc_lo, v160, v174
	v_add_co_ci_u32_e64 v163, null, v176, v175, vcc_lo
	v_add_co_u32 v182, vcc_lo, s37, v158
	v_add_co_ci_u32_e64 v183, null, s38, v159, vcc_lo
	global_load_dwordx4 v[158:161], v[162:163], off
	s_clause 0x1
	global_load_dwordx4 v[174:177], v[198:199], off offset:16
	global_load_dwordx4 v[178:181], v[198:199], off offset:32
	global_load_dwordx2 v[204:205], v[182:183], off
	v_add_co_u32 v166, vcc_lo, s37, v166
	v_add_co_ci_u32_e64 v167, null, s38, v167, vcc_lo
	v_add_co_u32 v186, vcc_lo, s37, v186
	v_add_co_ci_u32_e64 v187, null, s38, v187, vcc_lo
	global_load_dwordx2 v[206:207], v[166:167], off
	s_clause 0x1
	global_load_dwordx4 v[166:169], v[198:199], off offset:48
	global_load_dwordx4 v[182:185], v[198:199], off offset:64
	global_load_dwordx2 v[208:209], v[186:187], off
	s_clause 0x1
	global_load_dwordx4 v[186:189], v[198:199], off offset:80
	global_load_dwordx4 v[190:193], v[198:199], off offset:96
	;; [unrolled: 1-line block ×4, first 2 shown]
	s_waitcnt vmcnt(13)
	v_mul_f64 v[162:163], v[146:147], v[170:171]
	v_mul_f64 v[170:171], v[146:147], v[172:173]
	s_waitcnt vmcnt(12)
	v_fma_f64 v[162:163], v[162:163], v[202:203], 0
	s_waitcnt vmcnt(11)
	v_ashrrev_i32_e32 v210, 31, v159
	s_waitcnt vmcnt(10)
	v_mul_f64 v[172:173], v[146:147], v[174:175]
	s_waitcnt vmcnt(9)
	v_mul_f64 v[174:175], v[146:147], v[178:179]
	s_waitcnt vmcnt(8)
	v_fma_f64 v[162:163], v[170:171], v[204:205], v[162:163]
	v_lshrrev_b32_e32 v170, 29, v210
	s_waitcnt vmcnt(6)
	v_mul_f64 v[166:167], v[146:147], v[166:167]
	v_add_co_u32 v170, vcc_lo, v158, v170
	v_add_co_ci_u32_e64 v178, null, 0, v159, vcc_lo
	v_mul_f64 v[168:169], v[146:147], v[168:169]
	v_and_b32_e32 v179, -8, v170
	v_mul_f64 v[170:171], v[146:147], v[176:177]
	v_mul_f64 v[176:177], v[146:147], v[180:181]
	v_sub_co_u32 v158, vcc_lo, v158, v179
	v_sub_co_ci_u32_e64 v159, null, v159, v178, vcc_lo
	v_fma_f64 v[174:175], v[174:175], v[202:203], 0
	v_fma_f64 v[162:163], v[172:173], v[206:207], v[162:163]
	v_cmp_eq_u64_e32 vcc_lo, 1, v[158:159]
	v_cmp_eq_u64_e64 s0, 2, v[158:159]
	v_cmp_eq_u64_e64 s1, 3, v[158:159]
	;; [unrolled: 1-line block ×5, first 2 shown]
	v_cndmask_b32_e32 v172, v127, v129, vcc_lo
	v_cndmask_b32_e32 v173, v126, v128, vcc_lo
	v_cmp_eq_u64_e64 s5, 7, v[158:159]
	v_cndmask_b32_e64 v172, v172, v123, s0
	v_cndmask_b32_e64 v178, v173, v122, s0
	;; [unrolled: 1-line block ×4, first 2 shown]
	s_waitcnt vmcnt(5)
	v_mul_f64 v[172:173], v[146:147], v[182:183]
	v_fma_f64 v[174:175], v[176:177], v[204:205], v[174:175]
	s_waitcnt vmcnt(4)
	v_fma_f64 v[162:163], v[170:171], v[208:209], v[162:163]
	v_cndmask_b32_e64 v179, v179, v119, s2
	v_cndmask_b32_e64 v170, v178, v118, s2
	v_ashrrev_i32_e32 v178, 31, v161
	v_mul_f64 v[176:177], v[146:147], v[184:185]
	v_cndmask_b32_e64 v171, v179, v121, s3
	v_cndmask_b32_e64 v170, v170, v120, s3
	;; [unrolled: 1-line block ×6, first 2 shown]
	v_fma_f64 v[172:173], v[172:173], v[202:203], 0
	v_fma_f64 v[166:167], v[166:167], v[206:207], v[174:175]
	v_add_f64 v[162:163], v[170:171], -v[162:163]
	v_lshrrev_b32_e32 v170, 29, v178
	s_waitcnt vmcnt(2)
	v_mul_f64 v[174:175], v[146:147], v[190:191]
	v_add_co_u32 v170, s6, v160, v170
	v_add_co_ci_u32_e64 v178, null, 0, v161, s6
	v_cmp_eq_u64_e64 s6, 0, v[158:159]
	v_and_b32_e32 v179, -8, v170
	v_mul_f64 v[170:171], v[146:147], v[186:187]
	v_sub_co_u32 v158, s7, v160, v179
	v_sub_co_ci_u32_e64 v159, null, v161, v178, s7
	v_fma_f64 v[160:161], v[176:177], v[204:205], v[172:173]
	v_fma_f64 v[166:167], v[168:169], v[208:209], v[166:167]
	v_cndmask_b32_e64 v168, v126, v162, s6
	v_cndmask_b32_e64 v169, v127, v163, s6
	v_cmp_eq_u64_e64 s6, 1, v[158:159]
	v_cndmask_b32_e32 v129, v129, v163, vcc_lo
	v_cndmask_b32_e32 v128, v128, v162, vcc_lo
	v_cmp_eq_u64_e32 vcc_lo, 2, v[158:159]
	v_cndmask_b32_e64 v172, v122, v162, s0
	v_cndmask_b32_e64 v173, v123, v163, s0
	;; [unrolled: 1-line block ×4, first 2 shown]
	v_cmp_eq_u64_e64 s0, 3, v[158:159]
	v_cndmask_b32_e64 v176, v124, v162, s1
	v_cndmask_b32_e64 v177, v125, v163, s1
	v_cndmask_b32_e32 v122, v122, v173, vcc_lo
	v_cndmask_b32_e32 v123, v123, v172, vcc_lo
	v_cmp_eq_u64_e64 s1, 4, v[158:159]
	v_cndmask_b32_e64 v178, v118, v162, s2
	v_cndmask_b32_e64 v179, v119, v163, s2
	v_cndmask_b32_e64 v118, v122, v177, s0
	v_cndmask_b32_e64 v119, v123, v176, s0
	v_cmp_eq_u64_e64 s2, 5, v[158:159]
	v_cndmask_b32_e64 v180, v120, v162, s3
	v_cndmask_b32_e64 v181, v121, v163, s3
	v_cndmask_b32_e64 v118, v118, v179, s1
	v_cndmask_b32_e64 v119, v119, v178, s1
	;; [unrolled: 5-line block ×4, first 2 shown]
	s_waitcnt vmcnt(1)
	v_ashrrev_i32_e32 v124, 31, v195
	v_fma_f64 v[122:123], v[170:171], v[206:207], v[160:161]
	v_mul_f64 v[118:119], v[146:147], v[192:193]
	v_cndmask_b32_e64 v99, v98, v163, s4
	v_cndmask_b32_e64 v98, v100, v162, s4
	v_mul_f64 v[100:101], v[146:147], v[188:189]
	v_lshrrev_b32_e32 v124, 29, v124
	v_fma_f64 v[120:121], v[174:175], v[202:203], 0
	v_add_f64 v[98:99], v[98:99], -v[166:167]
	v_add_co_u32 v124, s5, v194, v124
	v_add_co_ci_u32_e64 v127, null, 0, v195, s5
	v_cmp_eq_u64_e64 s5, 0, v[158:159]
	v_and_b32_e32 v126, -8, v124
	s_waitcnt vmcnt(0)
	v_mul_f64 v[124:125], v[146:147], v[198:199]
	v_sub_co_u32 v126, s7, v194, v126
	v_sub_co_ci_u32_e64 v127, null, v195, v127, s7
	v_fma_f64 v[100:101], v[100:101], v[208:209], v[122:123]
	v_fma_f64 v[118:119], v[118:119], v[204:205], v[120:121]
	v_cndmask_b32_e64 v122, v168, v98, s5
	v_cndmask_b32_e64 v123, v129, v99, s6
	;; [unrolled: 1-line block ×3, first 2 shown]
	v_cmp_eq_u64_e64 s5, 1, v[126:127]
	v_cndmask_b32_e64 v128, v128, v98, s6
	v_cndmask_b32_e32 v158, v172, v98, vcc_lo
	v_cndmask_b32_e32 v159, v173, v99, vcc_lo
	v_cmp_eq_u64_e32 vcc_lo, 2, v[126:127]
	v_cndmask_b32_e64 v160, v176, v98, s0
	v_cndmask_b32_e64 v120, v129, v123, s5
	;; [unrolled: 1-line block ×4, first 2 shown]
	v_cmp_eq_u64_e64 s0, 3, v[126:127]
	v_cndmask_b32_e64 v166, v178, v98, s1
	v_cndmask_b32_e32 v120, v120, v159, vcc_lo
	v_cndmask_b32_e32 v121, v121, v158, vcc_lo
	v_cndmask_b32_e64 v167, v179, v99, s1
	v_cmp_eq_u64_e64 s1, 4, v[126:127]
	v_cndmask_b32_e64 v168, v180, v98, s2
	v_cndmask_b32_e64 v120, v120, v161, s0
	v_cndmask_b32_e64 v121, v121, v160, s0
	v_cndmask_b32_e64 v169, v181, v99, s2
	v_cmp_eq_u64_e64 s2, 5, v[126:127]
	v_cndmask_b32_e64 v170, v182, v98, s3
	v_cndmask_b32_e64 v120, v120, v167, s1
	v_cndmask_b32_e64 v121, v121, v166, s1
	;; [unrolled: 5-line block ×3, first 2 shown]
	v_cndmask_b32_e64 v163, v163, v99, s4
	v_cmp_eq_u64_e64 s4, 7, v[126:127]
	v_ashrrev_i32_e32 v172, 31, v197
	v_cndmask_b32_e64 v98, v120, v171, s3
	v_cndmask_b32_e64 v120, v121, v170, s3
	v_fma_f64 v[118:119], v[124:125], v[206:207], v[118:119]
	v_cndmask_b32_e64 v99, v98, v163, s4
	v_cndmask_b32_e64 v98, v120, v162, s4
	v_mul_f64 v[120:121], v[146:147], v[200:201]
	v_add_f64 v[98:99], v[98:99], -v[100:101]
	v_lshrrev_b32_e32 v100, 29, v172
	v_add_co_u32 v100, s6, v196, v100
	v_add_co_ci_u32_e64 v101, null, 0, v197, s6
	v_cmp_eq_u64_e64 s6, 0, v[126:127]
	v_and_b32_e32 v100, -8, v100
	v_sub_co_u32 v100, s7, v196, v100
	v_sub_co_ci_u32_e64 v101, null, v197, v101, s7
	v_fma_f64 v[118:119], v[120:121], v[208:209], v[118:119]
	v_cndmask_b32_e64 v172, v122, v98, s6
	v_cndmask_b32_e64 v174, v129, v99, s6
	v_cmp_eq_u64_e64 s6, 1, v[100:101]
	v_cndmask_b32_e64 v173, v123, v99, s5
	v_cndmask_b32_e64 v128, v128, v98, s5
	v_cndmask_b32_e32 v122, v158, v98, vcc_lo
	v_cndmask_b32_e32 v123, v159, v99, vcc_lo
	v_cmp_eq_u64_e32 vcc_lo, 2, v[100:101]
	v_cndmask_b32_e64 v120, v174, v173, s6
	v_cndmask_b32_e64 v121, v172, v128, s6
	;; [unrolled: 1-line block ×4, first 2 shown]
	v_cmp_eq_u64_e64 s0, 3, v[100:101]
	v_cndmask_b32_e32 v120, v120, v123, vcc_lo
	v_cndmask_b32_e32 v121, v121, v122, vcc_lo
	v_cndmask_b32_e64 v129, v166, v98, s1
	v_cndmask_b32_e64 v158, v167, v99, s1
	v_cmp_eq_u64_e64 s1, 4, v[100:101]
	v_cndmask_b32_e64 v120, v120, v125, s0
	v_cndmask_b32_e64 v121, v121, v124, s0
	v_cndmask_b32_e64 v159, v168, v98, s2
	v_cndmask_b32_e64 v160, v169, v99, s2
	v_cmp_eq_u64_e64 s2, 5, v[100:101]
	v_cndmask_b32_e64 v120, v120, v158, s1
	v_cndmask_b32_e64 v121, v121, v129, s1
	;; [unrolled: 5-line block ×4, first 2 shown]
	v_cmp_eq_u64_e64 s5, 0, v[100:101]
	v_cndmask_b32_e64 v99, v98, v163, s4
	v_cndmask_b32_e64 v98, v120, v162, s4
	v_add_f64 v[126:127], v[98:99], -v[118:119]
	v_cndmask_b32_e64 v101, v163, v127, s4
	v_cndmask_b32_e64 v100, v162, v126, s4
	;; [unrolled: 1-line block ×10, first 2 shown]
	v_cndmask_b32_e32 v123, v123, v127, vcc_lo
	v_cndmask_b32_e32 v122, v122, v126, vcc_lo
	v_cndmask_b32_e64 v129, v173, v127, s6
	v_cndmask_b32_e64 v128, v128, v126, s6
	;; [unrolled: 1-line block ×4, first 2 shown]
	s_branch .LBB0_9
.LBB0_22:
	s_endpgm
	.section	.rodata,"a",@progbits
	.p2align	6, 0x0
	.amdhsa_kernel _ZN8rajaperf4apps10FEMSweep3DILm64EEEvPdS2_S2_S2_S2_S2_lllPlS3_S3_S3_S3_S3_S3_S3_S3_
		.amdhsa_group_segment_fixed_size 0
		.amdhsa_private_segment_fixed_size 0
		.amdhsa_kernarg_size 144
		.amdhsa_user_sgpr_count 6
		.amdhsa_user_sgpr_private_segment_buffer 1
		.amdhsa_user_sgpr_dispatch_ptr 0
		.amdhsa_user_sgpr_queue_ptr 0
		.amdhsa_user_sgpr_kernarg_segment_ptr 1
		.amdhsa_user_sgpr_dispatch_id 0
		.amdhsa_user_sgpr_flat_scratch_init 0
		.amdhsa_user_sgpr_private_segment_size 0
		.amdhsa_wavefront_size32 1
		.amdhsa_uses_dynamic_stack 0
		.amdhsa_system_sgpr_private_segment_wavefront_offset 0
		.amdhsa_system_sgpr_workgroup_id_x 1
		.amdhsa_system_sgpr_workgroup_id_y 1
		.amdhsa_system_sgpr_workgroup_id_z 0
		.amdhsa_system_sgpr_workgroup_info 0
		.amdhsa_system_vgpr_workitem_id 0
		.amdhsa_next_free_vgpr 236
		.amdhsa_next_free_sgpr 54
		.amdhsa_reserve_vcc 1
		.amdhsa_reserve_flat_scratch 0
		.amdhsa_float_round_mode_32 0
		.amdhsa_float_round_mode_16_64 0
		.amdhsa_float_denorm_mode_32 3
		.amdhsa_float_denorm_mode_16_64 3
		.amdhsa_dx10_clamp 1
		.amdhsa_ieee_mode 1
		.amdhsa_fp16_overflow 0
		.amdhsa_workgroup_processor_mode 1
		.amdhsa_memory_ordered 1
		.amdhsa_forward_progress 1
		.amdhsa_shared_vgpr_count 0
		.amdhsa_exception_fp_ieee_invalid_op 0
		.amdhsa_exception_fp_denorm_src 0
		.amdhsa_exception_fp_ieee_div_zero 0
		.amdhsa_exception_fp_ieee_overflow 0
		.amdhsa_exception_fp_ieee_underflow 0
		.amdhsa_exception_fp_ieee_inexact 0
		.amdhsa_exception_int_div_zero 0
	.end_amdhsa_kernel
	.section	.text._ZN8rajaperf4apps10FEMSweep3DILm64EEEvPdS2_S2_S2_S2_S2_lllPlS3_S3_S3_S3_S3_S3_S3_S3_,"axG",@progbits,_ZN8rajaperf4apps10FEMSweep3DILm64EEEvPdS2_S2_S2_S2_S2_lllPlS3_S3_S3_S3_S3_S3_S3_S3_,comdat
.Lfunc_end0:
	.size	_ZN8rajaperf4apps10FEMSweep3DILm64EEEvPdS2_S2_S2_S2_S2_lllPlS3_S3_S3_S3_S3_S3_S3_S3_, .Lfunc_end0-_ZN8rajaperf4apps10FEMSweep3DILm64EEEvPdS2_S2_S2_S2_S2_lllPlS3_S3_S3_S3_S3_S3_S3_S3_
                                        ; -- End function
	.set _ZN8rajaperf4apps10FEMSweep3DILm64EEEvPdS2_S2_S2_S2_S2_lllPlS3_S3_S3_S3_S3_S3_S3_S3_.num_vgpr, 236
	.set _ZN8rajaperf4apps10FEMSweep3DILm64EEEvPdS2_S2_S2_S2_S2_lllPlS3_S3_S3_S3_S3_S3_S3_S3_.num_agpr, 0
	.set _ZN8rajaperf4apps10FEMSweep3DILm64EEEvPdS2_S2_S2_S2_S2_lllPlS3_S3_S3_S3_S3_S3_S3_S3_.numbered_sgpr, 54
	.set _ZN8rajaperf4apps10FEMSweep3DILm64EEEvPdS2_S2_S2_S2_S2_lllPlS3_S3_S3_S3_S3_S3_S3_S3_.num_named_barrier, 0
	.set _ZN8rajaperf4apps10FEMSweep3DILm64EEEvPdS2_S2_S2_S2_S2_lllPlS3_S3_S3_S3_S3_S3_S3_S3_.private_seg_size, 0
	.set _ZN8rajaperf4apps10FEMSweep3DILm64EEEvPdS2_S2_S2_S2_S2_lllPlS3_S3_S3_S3_S3_S3_S3_S3_.uses_vcc, 1
	.set _ZN8rajaperf4apps10FEMSweep3DILm64EEEvPdS2_S2_S2_S2_S2_lllPlS3_S3_S3_S3_S3_S3_S3_S3_.uses_flat_scratch, 0
	.set _ZN8rajaperf4apps10FEMSweep3DILm64EEEvPdS2_S2_S2_S2_S2_lllPlS3_S3_S3_S3_S3_S3_S3_S3_.has_dyn_sized_stack, 0
	.set _ZN8rajaperf4apps10FEMSweep3DILm64EEEvPdS2_S2_S2_S2_S2_lllPlS3_S3_S3_S3_S3_S3_S3_S3_.has_recursion, 0
	.set _ZN8rajaperf4apps10FEMSweep3DILm64EEEvPdS2_S2_S2_S2_S2_lllPlS3_S3_S3_S3_S3_S3_S3_S3_.has_indirect_call, 0
	.section	.AMDGPU.csdata,"",@progbits
; Kernel info:
; codeLenInByte = 21620
; TotalNumSgprs: 56
; NumVgprs: 236
; ScratchSize: 0
; MemoryBound: 0
; FloatMode: 240
; IeeeMode: 1
; LDSByteSize: 0 bytes/workgroup (compile time only)
; SGPRBlocks: 0
; VGPRBlocks: 29
; NumSGPRsForWavesPerEU: 56
; NumVGPRsForWavesPerEU: 236
; Occupancy: 4
; WaveLimiterHint : 1
; COMPUTE_PGM_RSRC2:SCRATCH_EN: 0
; COMPUTE_PGM_RSRC2:USER_SGPR: 6
; COMPUTE_PGM_RSRC2:TRAP_HANDLER: 0
; COMPUTE_PGM_RSRC2:TGID_X_EN: 1
; COMPUTE_PGM_RSRC2:TGID_Y_EN: 1
; COMPUTE_PGM_RSRC2:TGID_Z_EN: 0
; COMPUTE_PGM_RSRC2:TIDIG_COMP_CNT: 0
	.section	.text._ZN4RAJA34launch_new_reduce_global_fcn_fixedIZN8rajaperf4apps8FEMSWEEP17runHipVariantImplILm64EEEvNS1_9VariantIDEEUlNS_14LaunchContextTINS_3hip33LaunchContextIndicesAndDimsPolicyINS7_14IndicesAndDimsILb0ELb0ELb0ELb0EEEEEEEE_Li64ENS_4expt15ForallParamPackIJEEEEEvT_T1_,"axG",@progbits,_ZN4RAJA34launch_new_reduce_global_fcn_fixedIZN8rajaperf4apps8FEMSWEEP17runHipVariantImplILm64EEEvNS1_9VariantIDEEUlNS_14LaunchContextTINS_3hip33LaunchContextIndicesAndDimsPolicyINS7_14IndicesAndDimsILb0ELb0ELb0ELb0EEEEEEEE_Li64ENS_4expt15ForallParamPackIJEEEEEvT_T1_,comdat
	.protected	_ZN4RAJA34launch_new_reduce_global_fcn_fixedIZN8rajaperf4apps8FEMSWEEP17runHipVariantImplILm64EEEvNS1_9VariantIDEEUlNS_14LaunchContextTINS_3hip33LaunchContextIndicesAndDimsPolicyINS7_14IndicesAndDimsILb0ELb0ELb0ELb0EEEEEEEE_Li64ENS_4expt15ForallParamPackIJEEEEEvT_T1_ ; -- Begin function _ZN4RAJA34launch_new_reduce_global_fcn_fixedIZN8rajaperf4apps8FEMSWEEP17runHipVariantImplILm64EEEvNS1_9VariantIDEEUlNS_14LaunchContextTINS_3hip33LaunchContextIndicesAndDimsPolicyINS7_14IndicesAndDimsILb0ELb0ELb0ELb0EEEEEEEE_Li64ENS_4expt15ForallParamPackIJEEEEEvT_T1_
	.globl	_ZN4RAJA34launch_new_reduce_global_fcn_fixedIZN8rajaperf4apps8FEMSWEEP17runHipVariantImplILm64EEEvNS1_9VariantIDEEUlNS_14LaunchContextTINS_3hip33LaunchContextIndicesAndDimsPolicyINS7_14IndicesAndDimsILb0ELb0ELb0ELb0EEEEEEEE_Li64ENS_4expt15ForallParamPackIJEEEEEvT_T1_
	.p2align	8
	.type	_ZN4RAJA34launch_new_reduce_global_fcn_fixedIZN8rajaperf4apps8FEMSWEEP17runHipVariantImplILm64EEEvNS1_9VariantIDEEUlNS_14LaunchContextTINS_3hip33LaunchContextIndicesAndDimsPolicyINS7_14IndicesAndDimsILb0ELb0ELb0ELb0EEEEEEEE_Li64ENS_4expt15ForallParamPackIJEEEEEvT_T1_,@function
_ZN4RAJA34launch_new_reduce_global_fcn_fixedIZN8rajaperf4apps8FEMSWEEP17runHipVariantImplILm64EEEvNS1_9VariantIDEEUlNS_14LaunchContextTINS_3hip33LaunchContextIndicesAndDimsPolicyINS7_14IndicesAndDimsILb0ELb0ELb0ELb0EEEEEEEE_Li64ENS_4expt15ForallParamPackIJEEEEEvT_T1_: ; @_ZN4RAJA34launch_new_reduce_global_fcn_fixedIZN8rajaperf4apps8FEMSWEEP17runHipVariantImplILm64EEEvNS1_9VariantIDEEUlNS_14LaunchContextTINS_3hip33LaunchContextIndicesAndDimsPolicyINS7_14IndicesAndDimsILb0ELb0ELb0ELb0EEEEEEEE_Li64ENS_4expt15ForallParamPackIJEEEEEvT_T1_
; %bb.0:
	s_load_dwordx16 s[36:51], s[4:5], 0x8
	s_mov_b32 s2, s7
	s_mov_b32 s3, 0
	s_lshl_b64 s[0:1], s[2:3], 3
	s_waitcnt lgkmcnt(0)
	s_add_u32 s10, s38, s0
	s_mul_i32 s7, s47, s7
	s_mul_hi_u32 s12, s46, s2
	s_addc_u32 s11, s39, s1
	s_add_u32 s8, s40, s0
	s_addc_u32 s9, s41, s1
	s_add_i32 s35, s12, s7
	s_mul_i32 s34, s46, s2
	s_lshl_b64 s[30:31], s[34:35], 3
	s_add_u32 s0, s44, s30
	s_addc_u32 s1, s45, s31
	s_load_dwordx2 s[0:1], s[0:1], 0x0
	s_waitcnt lgkmcnt(0)
	s_add_u32 s0, s0, s34
	s_addc_u32 s1, s1, s35
	s_lshl_b64 s[0:1], s[0:1], 9
	s_add_u32 s0, s42, s0
	s_addc_u32 s1, s43, s1
	s_load_dwordx2 s[0:1], s[0:1], 0x0
	s_waitcnt lgkmcnt(0)
	v_cmp_ngt_f64_e64 s7, 0x41d00000, |s[0:1]|
	s_and_b32 vcc_lo, exec_lo, s7
	s_cbranch_vccz .LBB1_2
; %bb.1:
	v_ldexp_f64 v[1:2], |s[0:1]|, 0xffffff80
	v_cmp_le_f64_e64 vcc_lo, 0x7b000000, |s[0:1]|
	v_trig_preop_f64 v[3:4], |s[0:1]|, 0
	s_and_b32 s7, s1, 0x7fffffff
	v_trig_preop_f64 v[5:6], |s[0:1]|, 1
	v_trig_preop_f64 v[15:16], |s[0:1]|, 2
	s_mov_b32 s12, s3
	s_mov_b32 s14, 0x33145c07
	;; [unrolled: 1-line block ×3, first 2 shown]
	v_cndmask_b32_e32 v2, s7, v2, vcc_lo
	v_cndmask_b32_e32 v1, s0, v1, vcc_lo
	v_mul_f64 v[7:8], v[3:4], v[1:2]
	v_mul_f64 v[9:10], v[5:6], v[1:2]
	;; [unrolled: 1-line block ×3, first 2 shown]
	v_fma_f64 v[3:4], v[3:4], v[1:2], -v[7:8]
	v_fma_f64 v[5:6], v[5:6], v[1:2], -v[9:10]
	;; [unrolled: 1-line block ×3, first 2 shown]
	v_add_f64 v[11:12], v[9:10], v[3:4]
	v_add_f64 v[13:14], v[11:12], -v[9:10]
	v_add_f64 v[19:20], v[7:8], v[11:12]
	v_add_f64 v[17:18], v[11:12], -v[13:14]
	v_add_f64 v[3:4], v[3:4], -v[13:14]
	v_ldexp_f64 v[13:14], v[19:20], -2
	v_add_f64 v[7:8], v[19:20], -v[7:8]
	v_add_f64 v[9:10], v[9:10], -v[17:18]
	v_add_f64 v[17:18], v[21:22], v[5:6]
	v_cmp_neq_f64_e64 vcc_lo, 0x7ff00000, |v[13:14]|
	v_add_f64 v[7:8], v[11:12], -v[7:8]
	v_add_f64 v[3:4], v[3:4], v[9:10]
	v_fract_f64_e32 v[9:10], v[13:14]
	v_add_f64 v[11:12], v[17:18], v[3:4]
	v_ldexp_f64 v[9:10], v[9:10], 2
	v_add_f64 v[13:14], v[7:8], v[11:12]
	v_cndmask_b32_e32 v10, 0, v10, vcc_lo
	v_cndmask_b32_e32 v9, 0, v9, vcc_lo
	v_add_f64 v[23:24], v[11:12], -v[17:18]
	v_add_f64 v[19:20], v[13:14], v[9:10]
	v_add_f64 v[7:8], v[13:14], -v[7:8]
	v_add_f64 v[29:30], v[11:12], -v[23:24]
	;; [unrolled: 1-line block ×3, first 2 shown]
	v_cmp_gt_f64_e32 vcc_lo, 0, v[19:20]
	v_add_f64 v[19:20], v[17:18], -v[21:22]
	v_add_f64 v[7:8], v[11:12], -v[7:8]
	s_and_b32 s7, vcc_lo, exec_lo
	s_cselect_b32 s13, 0x40100000, 0
	v_add_f64 v[27:28], v[17:18], -v[19:20]
	v_add_f64 v[9:10], v[9:10], s[12:13]
	v_add_f64 v[5:6], v[5:6], -v[19:20]
	v_add_f64 v[17:18], v[17:18], -v[29:30]
	;; [unrolled: 1-line block ×3, first 2 shown]
	v_add_f64 v[25:26], v[13:14], v[9:10]
	v_add_f64 v[3:4], v[3:4], v[17:18]
	;; [unrolled: 1-line block ×3, first 2 shown]
	v_cvt_i32_f64_e32 v25, v[25:26]
	v_add_f64 v[3:4], v[5:6], v[3:4]
	v_cvt_f64_i32_e32 v[23:24], v25
	v_readfirstlane_b32 s7, v25
	v_add_f64 v[1:2], v[1:2], v[3:4]
	v_add_f64 v[9:10], v[9:10], -v[23:24]
	v_add_f64 v[1:2], v[7:8], v[1:2]
	v_add_f64 v[5:6], v[13:14], v[9:10]
	v_add_f64 v[3:4], v[5:6], -v[9:10]
	v_cmp_le_f64_e32 vcc_lo, 0.5, v[5:6]
	v_add_f64 v[3:4], v[13:14], -v[3:4]
	s_cmp_lg_u32 vcc_lo, 0
	s_addc_u32 s7, s7, 0
	s_and_b32 s13, vcc_lo, exec_lo
	s_cselect_b32 s13, 0x3ff00000, 0
	v_add_f64 v[1:2], v[1:2], v[3:4]
	v_add_f64 v[3:4], v[5:6], -s[12:13]
	s_mov_b32 s12, 0x54442d18
	s_mov_b32 s13, 0x3ff921fb
	v_add_f64 v[5:6], v[3:4], v[1:2]
	v_mul_f64 v[7:8], v[5:6], s[12:13]
	v_add_f64 v[3:4], v[5:6], -v[3:4]
	v_fma_f64 v[9:10], v[5:6], s[12:13], -v[7:8]
	v_add_f64 v[1:2], v[1:2], -v[3:4]
	v_fma_f64 v[3:4], v[5:6], s[14:15], v[9:10]
	v_fma_f64 v[3:4], v[1:2], s[12:13], v[3:4]
	v_add_f64 v[1:2], v[7:8], v[3:4]
	v_add_f64 v[5:6], v[1:2], -v[7:8]
	v_add_f64 v[3:4], v[3:4], -v[5:6]
	s_load_dwordx2 s[28:29], s[10:11], 0x0
	s_andn2_b32 vcc_lo, exec_lo, s3
	s_cbranch_vccz .LBB1_3
	s_branch .LBB1_4
.LBB1_2:
                                        ; implicit-def: $sgpr7
                                        ; implicit-def: $vgpr1_vgpr2
                                        ; implicit-def: $vgpr3_vgpr4
	s_load_dwordx2 s[28:29], s[10:11], 0x0
.LBB1_3:
	s_mov_b32 s10, 0x6dc9c883
	s_mov_b32 s11, 0x3fe45f30
	;; [unrolled: 1-line block ×3, first 2 shown]
	v_mul_f64 v[1:2], |s[0:1]|, s[10:11]
	s_mov_b32 s10, 0x54442d18
	s_mov_b32 s11, 0xbff921fb
	;; [unrolled: 1-line block ×3, first 2 shown]
	v_rndne_f64_e32 v[3:4], v[1:2]
	v_fma_f64 v[1:2], v[3:4], s[10:11], |s[0:1]|
	v_mul_f64 v[5:6], v[3:4], s[12:13]
	s_mov_b32 s10, 0x252049c0
	s_mov_b32 s11, 0xb97b839a
	v_fma_f64 v[11:12], v[3:4], s[12:13], v[1:2]
	v_add_f64 v[7:8], v[1:2], v[5:6]
	s_mov_b32 s13, 0x3c91a626
	v_add_f64 v[9:10], v[1:2], -v[7:8]
	v_add_f64 v[7:8], v[7:8], -v[11:12]
	v_add_f64 v[1:2], v[9:10], v[5:6]
	v_fma_f64 v[5:6], v[3:4], s[12:13], v[5:6]
	v_cvt_i32_f64_e32 v9, v[3:4]
	v_add_f64 v[1:2], v[7:8], v[1:2]
	v_readfirstlane_b32 s7, v9
	v_add_f64 v[1:2], v[1:2], -v[5:6]
	v_fma_f64 v[5:6], v[3:4], s[10:11], v[1:2]
	v_add_f64 v[1:2], v[11:12], v[5:6]
	v_add_f64 v[7:8], v[1:2], -v[11:12]
	v_add_f64 v[3:4], v[5:6], -v[7:8]
.LBB1_4:
	s_waitcnt lgkmcnt(0)
	v_cmp_lt_i64_e64 s3, s[28:29], 1
	s_and_b32 vcc_lo, exec_lo, s3
	s_cbranch_vccnz .LBB1_22
; %bb.5:
	v_mul_f64 v[5:6], v[1:2], v[1:2]
	s_mov_b32 s10, 0xb42fdfa7
	s_mov_b32 s12, 0xf9a43bb8
	;; [unrolled: 1-line block ×6, first 2 shown]
	v_mul_f64 v[15:16], v[3:4], 0.5
	v_cmp_class_f64_e64 s0, s[0:1], 0x1f8
	s_bitcmp0_b32 s7, 0
	s_mul_i32 s41, s36, s35
	s_cselect_b32 vcc_lo, -1, 0
	s_mul_hi_u32 s53, s36, s34
	s_mul_i32 s3, s2, s47
	s_mul_hi_u32 s40, s2, s46
	s_mul_i32 s54, s37, s34
	s_mul_i32 s55, s35, 48
	s_mul_hi_u32 s56, s34, 48
	s_mul_i32 s57, s34, 48
	s_mul_i32 s47, s47, s6
	;; [unrolled: 1-line block ×3, first 2 shown]
	v_fma_f64 v[7:8], v[5:6], s[12:13], s[10:11]
	s_mov_b32 s10, 0x9037ab78
	s_mov_b32 s12, 0x46cc5e42
	;; [unrolled: 1-line block ×4, first 2 shown]
	v_mul_f64 v[11:12], v[5:6], 0.5
	v_fma_f64 v[9:10], v[5:6], s[12:13], s[10:11]
	s_mov_b32 s10, 0xa17f65f6
	s_mov_b32 s12, 0x19e83e5c
	;; [unrolled: 1-line block ×4, first 2 shown]
	v_mul_f64 v[17:18], v[1:2], -v[5:6]
	v_fma_f64 v[7:8], v[5:6], v[7:8], s[14:15]
	v_add_f64 v[13:14], -v[11:12], 1.0
	v_fma_f64 v[9:10], v[5:6], v[9:10], s[10:11]
	s_mov_b32 s10, 0x19f4ec90
	s_mov_b32 s11, 0x3efa01a0
	v_fma_f64 v[7:8], v[5:6], v[7:8], s[12:13]
	s_mov_b32 s12, 0x11110bb3
	s_mov_b32 s13, 0x3f811111
	v_add_f64 v[19:20], -v[13:14], 1.0
	v_fma_f64 v[9:10], v[5:6], v[9:10], s[10:11]
	s_mov_b32 s10, 0x16c16967
	s_mov_b32 s11, 0xbf56c16c
	v_fma_f64 v[7:8], v[5:6], v[7:8], s[12:13]
	v_add_f64 v[11:12], v[19:20], -v[11:12]
	v_fma_f64 v[9:10], v[5:6], v[9:10], s[10:11]
	s_mov_b32 s11, 0x3fa55555
	s_mov_b32 s10, 0x55555555
	v_fma_f64 v[7:8], v[17:18], v[7:8], v[15:16]
	v_mul_f64 v[15:16], v[5:6], v[5:6]
	v_fma_f64 v[11:12], v[1:2], -v[3:4], v[11:12]
	v_fma_f64 v[9:10], v[5:6], v[9:10], s[10:11]
	s_mov_b32 s11, 0xbfc55555
	v_fma_f64 v[3:4], v[5:6], v[7:8], -v[3:4]
	v_fma_f64 v[5:6], v[15:16], v[9:10], v[11:12]
	v_fma_f64 v[3:4], v[17:18], s[10:11], v[3:4]
	s_load_dwordx16 s[12:27], s[4:5], 0x48
	s_load_dwordx2 s[38:39], s[8:9], 0x0
	s_load_dwordx4 s[8:11], s[4:5], 0x88
	s_lshl_b32 s4, s7, 30
	s_mul_hi_u32 s7, s46, s6
	s_xor_b32 s1, s4, s1
	s_mul_i32 s6, s46, s6
	v_add_f64 v[5:6], v[13:14], v[5:6]
	s_and_b32 s1, s1, 0x80000000
	s_waitcnt lgkmcnt(0)
	s_lshl_b64 s[4:5], s[38:39], 3
	s_add_u32 s33, s48, s4
	v_add_f64 v[1:2], v[1:2], -v[3:4]
	s_addc_u32 s38, s49, s5
	s_lshl_b64 s[4:5], s[34:35], 6
	s_add_i32 s3, s40, s3
	s_mul_i32 s3, s3, s36
	v_cndmask_b32_e32 v2, v6, v2, vcc_lo
	v_cndmask_b32_e32 v1, v5, v1, vcc_lo
	v_xor_b32_e32 v2, s1, v2
	v_cndmask_b32_e64 v1, 0, v1, s0
	s_add_i32 s1, s53, s41
	s_add_i32 s1, s1, s54
	v_cndmask_b32_e64 v2, 0x7ff80000, v2, s0
	s_add_u32 s39, s50, s4
	s_addc_u32 s40, s51, s5
	s_lshl_b64 s[4:5], s[34:35], 9
	s_mul_i32 s0, s52, s37
	v_add_f64 v[1:2], v[1:2], -2.0
	s_add_u32 s41, s42, s4
	s_addc_u32 s42, s43, s5
	s_add_i32 s56, s56, s55
	s_add_u32 s18, s18, s57
	s_addc_u32 s19, s19, s56
	s_add_i32 s7, s7, s47
	s_mul_hi_u32 s35, s52, s36
	s_lshl_b64 s[4:5], s[6:7], 3
	s_add_u32 s37, s8, s4
	s_addc_u32 s43, s9, s5
	s_lshl_b64 s[4:5], s[6:7], 6
	s_add_u32 s6, s26, s4
	s_addc_u32 s7, s27, s5
	s_add_i32 s0, s35, s0
	s_mul_i32 s4, s52, s36
	s_add_i32 s5, s0, s3
	s_mul_i32 s0, s36, s34
	s_lshl_b64 s[4:5], s[4:5], 6
	s_mul_hi_u32 s3, s2, s24
	v_max_f64 v[146:147], v[1:2], 0
	s_add_u32 s36, s6, s4
	s_addc_u32 s46, s7, s5
	s_lshl_b64 s[0:1], s[0:1], 6
	v_lshlrev_b32_e32 v2, 3, v0
	s_add_u32 s47, s6, s0
	s_mul_i32 s0, s2, s25
	s_addc_u32 s48, s7, s1
	s_add_i32 s1, s3, s0
	s_mul_i32 s0, s2, s24
	v_mov_b32_e32 v1, 0
	s_lshl_b64 s[24:25], s[0:1], 8
	s_add_u32 s0, s44, s30
	s_addc_u32 s1, s45, s31
	v_add_co_u32 v164, s0, s0, v2
	v_add_co_ci_u32_e64 v165, null, s1, 0, s0
	s_mov_b64 s[26:27], 0
	s_mov_b64 s[30:31], 0
	s_branch .LBB1_7
.LBB1_6:                                ;   in Loop: Header=BB1_7 Depth=1
	s_or_b32 exec_lo, exec_lo, s44
	s_add_u32 s30, s34, s30
	s_addc_u32 s31, s35, s31
	s_add_u32 s26, s26, 1
	s_addc_u32 s27, s27, 0
	s_waitcnt_vscnt null, 0x0
	s_cmp_lg_u64 s[26:27], s[28:29]
	s_barrier
	buffer_gl0_inv
	s_cbranch_scc0 .LBB1_22
.LBB1_7:                                ; =>This Loop Header: Depth=1
                                        ;     Child Loop BB1_10 Depth 2
	s_lshl_b64 s[0:1], s[26:27], 3
	s_mov_b32 s44, exec_lo
	s_add_u32 s0, s33, s0
	s_addc_u32 s1, s38, s1
	s_load_dwordx2 s[34:35], s[0:1], 0x0
	s_waitcnt lgkmcnt(0)
	v_cmpx_gt_i64_e64 s[34:35], v[0:1]
	s_cbranch_execz .LBB1_6
; %bb.8:                                ;   in Loop: Header=BB1_7 Depth=1
	s_lshl_b64 s[0:1], s[30:31], 3
	v_mov_b32_e32 v151, v1
	v_add_co_u32 v148, vcc_lo, v164, s0
	v_add_co_ci_u32_e64 v149, null, s1, v165, vcc_lo
	v_mov_b32_e32 v150, v0
	s_mov_b32 s45, 0
	s_branch .LBB1_10
.LBB1_9:                                ;   in Loop: Header=BB1_10 Depth=2
	s_or_b32 exec_lo, exec_lo, s8
	v_lshlrev_b64 v[154:155], 3, v[154:155]
	v_add_co_u32 v154, vcc_lo, s37, v154
	v_add_co_ci_u32_e64 v155, null, s43, v155, vcc_lo
	v_add_co_u32 v156, vcc_lo, s10, v156
	v_add_co_ci_u32_e64 v157, null, s11, v157, vcc_lo
	global_load_dwordx2 v[154:155], v[154:155], off
	s_clause 0x7
	global_load_dwordx4 v[158:161], v[156:157], off
	global_load_dwordx4 v[166:169], v[156:157], off offset:16
	global_load_dwordx4 v[170:173], v[156:157], off offset:32
	global_load_dwordx4 v[174:177], v[156:157], off offset:48
	global_load_dwordx4 v[178:181], v[156:157], off offset:64
	global_load_dwordx4 v[182:185], v[156:157], off offset:80
	global_load_dwordx4 v[186:189], v[156:157], off offset:96
	global_load_dwordx4 v[190:193], v[156:157], off offset:112
	s_waitcnt vmcnt(7)
	v_fma_f64 v[142:143], v[154:155], v[158:159], v[142:143]
	v_fma_f64 v[162:163], v[154:155], v[160:161], v[144:145]
	s_waitcnt vmcnt(6)
	v_fma_f64 v[138:139], v[154:155], v[166:167], v[138:139]
	v_fma_f64 v[140:141], v[154:155], v[168:169], v[140:141]
	;; [unrolled: 3-line block ×4, first 2 shown]
	s_waitcnt vmcnt(3)
	v_fma_f64 v[116:117], v[154:155], v[180:181], v[116:117]
	s_waitcnt vmcnt(2)
	v_fma_f64 v[112:113], v[154:155], v[184:185], v[112:113]
	;; [unrolled: 2-line block ×3, first 2 shown]
	v_fma_f64 v[108:109], v[154:155], v[188:189], v[108:109]
	s_waitcnt vmcnt(0)
	v_fma_f64 v[102:103], v[154:155], v[190:191], v[102:103]
	v_fma_f64 v[104:105], v[154:155], v[192:193], v[104:105]
	v_div_scale_f64 v[130:131], null, v[142:143], v[142:143], v[162:163]
	v_div_scale_f64 v[132:133], null, v[142:143], v[142:143], v[138:139]
	;; [unrolled: 1-line block ×7, first 2 shown]
	v_div_scale_f64 v[222:223], vcc_lo, v[162:163], v[142:143], v[162:163]
	v_rcp_f64_e32 v[158:159], v[130:131]
	v_rcp_f64_e32 v[160:161], v[132:133]
	;; [unrolled: 1-line block ×7, first 2 shown]
	v_fma_f64 v[204:205], -v[130:131], v[158:159], 1.0
	v_fma_f64 v[206:207], -v[132:133], v[160:161], 1.0
	;; [unrolled: 1-line block ×7, first 2 shown]
	v_fma_f64 v[204:205], v[158:159], v[204:205], v[158:159]
	v_fma_f64 v[206:207], v[160:161], v[206:207], v[160:161]
	global_load_dwordx4 v[158:161], v[156:157], off offset:128
	v_fma_f64 v[174:175], v[174:175], v[208:209], v[174:175]
	v_fma_f64 v[176:177], v[176:177], v[210:211], v[176:177]
	;; [unrolled: 1-line block ×5, first 2 shown]
	v_fma_f64 v[208:209], -v[130:131], v[204:205], 1.0
	v_fma_f64 v[210:211], -v[132:133], v[206:207], 1.0
	;; [unrolled: 1-line block ×7, first 2 shown]
	v_fma_f64 v[204:205], v[204:205], v[208:209], v[204:205]
	v_div_scale_f64 v[208:209], s0, v[138:139], v[142:143], v[138:139]
	v_fma_f64 v[206:207], v[206:207], v[210:211], v[206:207]
	v_div_scale_f64 v[210:211], s1, v[140:141], v[142:143], v[140:141]
	;; [unrolled: 2-line block ×6, first 2 shown]
	v_fma_f64 v[202:203], v[202:203], v[220:221], v[202:203]
	v_mul_f64 v[220:221], v[222:223], v[204:205]
	v_mul_f64 v[224:225], v[208:209], v[206:207]
	;; [unrolled: 1-line block ×7, first 2 shown]
	v_fma_f64 v[130:131], -v[130:131], v[220:221], v[222:223]
	v_fma_f64 v[132:133], -v[132:133], v[224:225], v[208:209]
	;; [unrolled: 1-line block ×5, first 2 shown]
	global_load_dwordx4 v[166:169], v[156:157], off offset:144
	v_fma_f64 v[216:217], -v[170:171], v[232:233], v[216:217]
	v_fma_f64 v[218:219], -v[172:173], v[234:235], v[218:219]
	s_clause 0x1
	global_load_dwordx4 v[170:173], v[156:157], off offset:176
	global_load_dwordx4 v[174:177], v[156:157], off offset:160
	v_div_fmas_f64 v[130:131], v[130:131], v[204:205], v[220:221]
	s_mov_b32 vcc_lo, s0
	v_div_fmas_f64 v[132:133], v[132:133], v[206:207], v[224:225]
	s_mov_b32 vcc_lo, s1
	;; [unrolled: 2-line block ×3, first 2 shown]
	v_fma_f64 v[144:145], v[154:155], v[178:179], v[114:115]
	v_div_fmas_f64 v[206:207], v[208:209], v[214:215], v[228:229]
	s_mov_b32 vcc_lo, s3
	v_div_fmas_f64 v[198:199], v[210:211], v[198:199], v[230:231]
	s_mov_b32 vcc_lo, s4
	;; [unrolled: 2-line block ×3, first 2 shown]
	v_div_fmas_f64 v[202:203], v[218:219], v[202:203], v[234:235]
	v_div_fixup_f64 v[114:115], v[130:131], v[142:143], v[162:163]
	v_fma_f64 v[162:163], v[154:155], v[182:183], v[110:111]
	v_div_fixup_f64 v[130:131], v[132:133], v[142:143], v[138:139]
	v_div_fixup_f64 v[132:133], v[204:205], v[142:143], v[140:141]
	;; [unrolled: 1-line block ×6, first 2 shown]
	v_fma_f64 v[110:111], v[114:115], v[144:145], 0
	v_fma_f64 v[178:179], v[130:131], v[144:145], 0
	;; [unrolled: 1-line block ×7, first 2 shown]
	v_add_f64 v[110:111], v[116:117], -v[110:111]
	v_add_f64 v[162:163], v[162:163], -v[178:179]
	;; [unrolled: 1-line block ×3, first 2 shown]
	global_load_dwordx4 v[178:181], v[156:157], off offset:192
	v_add_f64 v[106:107], v[106:107], -v[182:183]
	v_add_f64 v[108:109], v[108:109], -v[184:185]
	;; [unrolled: 1-line block ×4, first 2 shown]
	v_div_scale_f64 v[102:103], null, v[110:111], v[110:111], v[162:163]
	v_div_scale_f64 v[220:221], vcc_lo, v[162:163], v[110:111], v[162:163]
	v_div_scale_f64 v[104:105], null, v[110:111], v[110:111], v[194:195]
	v_div_scale_f64 v[116:117], null, v[110:111], v[110:111], v[106:107]
	v_div_scale_f64 v[222:223], s0, v[194:195], v[110:111], v[194:195]
	v_div_scale_f64 v[186:187], null, v[110:111], v[110:111], v[108:109]
	v_div_scale_f64 v[188:189], null, v[110:111], v[110:111], v[196:197]
	;; [unrolled: 1-line block ×3, first 2 shown]
	v_rcp_f64_e32 v[112:113], v[102:103]
	v_rcp_f64_e32 v[182:183], v[104:105]
	;; [unrolled: 1-line block ×6, first 2 shown]
	v_fma_f64 v[204:205], -v[102:103], v[112:113], 1.0
	v_fma_f64 v[206:207], -v[104:105], v[182:183], 1.0
	v_fma_f64 v[208:209], -v[116:117], v[184:185], 1.0
	v_fma_f64 v[210:211], -v[186:187], v[192:193], 1.0
	v_fma_f64 v[212:213], -v[188:189], v[200:201], 1.0
	v_fma_f64 v[214:215], -v[190:191], v[202:203], 1.0
	v_fma_f64 v[112:113], v[112:113], v[204:205], v[112:113]
	v_fma_f64 v[204:205], v[182:183], v[206:207], v[182:183]
	;; [unrolled: 1-line block ×3, first 2 shown]
	global_load_dwordx4 v[182:185], v[156:157], off offset:208
	v_fma_f64 v[192:193], v[192:193], v[210:211], v[192:193]
	v_fma_f64 v[200:201], v[200:201], v[212:213], v[200:201]
	;; [unrolled: 1-line block ×3, first 2 shown]
	v_fma_f64 v[208:209], -v[102:103], v[112:113], 1.0
	v_fma_f64 v[210:211], -v[104:105], v[204:205], 1.0
	;; [unrolled: 1-line block ×6, first 2 shown]
	v_fma_f64 v[208:209], v[112:113], v[208:209], v[112:113]
	v_fma_f64 v[204:205], v[204:205], v[210:211], v[204:205]
	v_div_scale_f64 v[210:211], s1, v[106:107], v[110:111], v[106:107]
	v_fma_f64 v[206:207], v[206:207], v[212:213], v[206:207]
	v_div_scale_f64 v[212:213], s2, v[108:109], v[110:111], v[108:109]
	;; [unrolled: 2-line block ×4, first 2 shown]
	v_fma_f64 v[202:203], v[202:203], v[218:219], v[202:203]
	s_waitcnt vmcnt(5)
	v_fma_f64 v[112:113], v[154:155], v[158:159], v[94:95]
	v_fma_f64 v[96:97], v[154:155], v[160:161], v[96:97]
	v_mul_f64 v[218:219], v[220:221], v[208:209]
	v_mul_f64 v[224:225], v[222:223], v[204:205]
	;; [unrolled: 1-line block ×6, first 2 shown]
	v_fma_f64 v[160:161], v[114:115], v[112:113], 0
	v_fma_f64 v[94:95], -v[102:103], v[218:219], v[220:221]
	v_fma_f64 v[102:103], -v[104:105], v[224:225], v[222:223]
	;; [unrolled: 1-line block ×6, first 2 shown]
	s_clause 0x1
	global_load_dwordx4 v[186:189], v[156:157], off offset:224
	global_load_dwordx4 v[190:193], v[156:157], off offset:240
	v_div_fmas_f64 v[94:95], v[94:95], v[208:209], v[218:219]
	s_mov_b32 vcc_lo, s0
	v_div_fmas_f64 v[102:103], v[102:103], v[204:205], v[224:225]
	s_mov_b32 vcc_lo, s1
	;; [unrolled: 2-line block ×3, first 2 shown]
	v_fma_f64 v[206:207], v[132:133], v[112:113], 0
	v_div_fmas_f64 v[204:205], v[116:117], v[214:215], v[228:229]
	s_mov_b32 vcc_lo, s3
	v_add_f64 v[116:117], v[96:97], -v[160:161]
	v_div_fmas_f64 v[158:159], v[158:159], v[200:201], v[230:231]
	s_mov_b32 vcc_lo, s4
	v_fma_f64 v[160:161], v[134:135], v[112:113], 0
	v_div_fmas_f64 v[200:201], v[210:211], v[202:203], v[232:233]
	v_fma_f64 v[202:203], v[130:131], v[112:113], 0
	v_div_fixup_f64 v[94:95], v[94:95], v[110:111], v[162:163]
	v_fma_f64 v[162:163], v[136:137], v[112:113], 0
	v_div_fixup_f64 v[96:97], v[102:103], v[110:111], v[194:195]
	;; [unrolled: 2-line block ×3, first 2 shown]
	v_div_fixup_f64 v[104:105], v[204:205], v[110:111], v[108:109]
	v_div_fixup_f64 v[106:107], v[158:159], v[110:111], v[196:197]
	v_fma_f64 v[158:159], v[140:141], v[112:113], 0
	v_div_fixup_f64 v[108:109], v[200:201], v[110:111], v[198:199]
	s_waitcnt vmcnt(6)
	v_fma_f64 v[90:91], v[154:155], v[166:167], v[90:91]
	v_fma_f64 v[92:93], v[154:155], v[168:169], v[92:93]
	;; [unrolled: 1-line block ×3, first 2 shown]
	s_waitcnt vmcnt(5)
	v_fma_f64 v[82:83], v[154:155], v[170:171], v[82:83]
	v_fma_f64 v[168:169], v[96:97], v[116:117], v[206:207]
	s_waitcnt vmcnt(4)
	v_fma_f64 v[174:175], v[154:155], v[174:175], v[86:87]
	v_fma_f64 v[88:89], v[154:155], v[176:177], v[88:89]
	;; [unrolled: 1-line block ×7, first 2 shown]
	v_add_f64 v[86:87], v[90:91], -v[166:167]
	v_add_f64 v[92:93], v[92:93], -v[168:169]
	;; [unrolled: 1-line block ×6, first 2 shown]
	global_load_dwordx4 v[158:161], v[156:157], off offset:256
	v_div_scale_f64 v[170:171], null, v[86:87], v[86:87], v[92:93]
	v_div_scale_f64 v[172:173], null, v[86:87], v[86:87], v[194:195]
	v_div_scale_f64 v[174:175], null, v[86:87], v[86:87], v[162:163]
	v_div_scale_f64 v[176:177], null, v[86:87], v[86:87], v[82:83]
	v_div_scale_f64 v[196:197], null, v[86:87], v[86:87], v[84:85]
	v_rcp_f64_e32 v[88:89], v[170:171]
	v_rcp_f64_e32 v[90:91], v[172:173]
	;; [unrolled: 1-line block ×4, first 2 shown]
	s_waitcnt vmcnt(4)
	v_fma_f64 v[80:81], v[154:155], v[180:181], v[80:81]
	v_rcp_f64_e32 v[198:199], v[196:197]
	v_fma_f64 v[200:201], -v[170:171], v[88:89], 1.0
	v_fma_f64 v[202:203], -v[172:173], v[90:91], 1.0
	;; [unrolled: 1-line block ×5, first 2 shown]
	v_fma_f64 v[200:201], v[88:89], v[200:201], v[88:89]
	v_fma_f64 v[88:89], v[154:155], v[178:179], v[78:79]
	v_div_scale_f64 v[78:79], vcc_lo, v[92:93], v[86:87], v[92:93]
	v_fma_f64 v[90:91], v[90:91], v[202:203], v[90:91]
	v_fma_f64 v[202:203], v[166:167], v[204:205], v[166:167]
	v_fma_f64 v[204:205], v[168:169], v[206:207], v[168:169]
	global_load_dwordx4 v[166:169], v[156:157], off offset:272
	v_fma_f64 v[198:199], v[198:199], v[208:209], v[198:199]
	v_fma_f64 v[206:207], -v[170:171], v[200:201], 1.0
	v_fma_f64 v[222:223], v[130:131], v[88:89], 0
	v_fma_f64 v[224:225], v[138:139], v[88:89], 0
	;; [unrolled: 1-line block ×3, first 2 shown]
	v_fma_f64 v[208:209], -v[172:173], v[90:91], 1.0
	v_fma_f64 v[210:211], -v[174:175], v[202:203], 1.0
	;; [unrolled: 1-line block ×4, first 2 shown]
	v_fma_f64 v[178:179], v[200:201], v[206:207], v[200:201]
	v_div_scale_f64 v[200:201], s0, v[194:195], v[86:87], v[194:195]
	v_fma_f64 v[206:207], v[90:91], v[208:209], v[90:91]
	v_div_scale_f64 v[208:209], s1, v[162:163], v[86:87], v[162:163]
	;; [unrolled: 2-line block ×4, first 2 shown]
	v_fma_f64 v[198:199], v[198:199], v[214:215], v[198:199]
	v_fma_f64 v[90:91], v[114:115], v[88:89], 0
	s_waitcnt vmcnt(4)
	v_fma_f64 v[74:75], v[154:155], v[182:183], v[74:75]
	v_fma_f64 v[182:183], v[132:133], v[88:89], 0
	;; [unrolled: 1-line block ×3, first 2 shown]
	v_mul_f64 v[180:181], v[78:79], v[178:179]
	v_mul_f64 v[214:215], v[200:201], v[206:207]
	;; [unrolled: 1-line block ×5, first 2 shown]
	v_add_f64 v[90:91], v[80:81], -v[90:91]
	v_fma_f64 v[78:79], -v[170:171], v[180:181], v[78:79]
	v_fma_f64 v[80:81], -v[172:173], v[214:215], v[200:201]
	;; [unrolled: 1-line block ×4, first 2 shown]
	s_clause 0x1
	global_load_dwordx4 v[170:173], v[156:157], off offset:304
	global_load_dwordx4 v[174:177], v[156:157], off offset:288
	v_fma_f64 v[210:211], v[134:135], v[88:89], 0
	v_fma_f64 v[196:197], -v[196:197], v[220:221], v[212:213]
	v_fma_f64 v[222:223], v[94:95], v[90:91], v[222:223]
	v_fma_f64 v[212:213], v[136:137], v[88:89], 0
	;; [unrolled: 1-line block ×3, first 2 shown]
	v_div_fmas_f64 v[78:79], v[78:79], v[178:179], v[180:181]
	s_mov_b32 vcc_lo, s0
	v_div_fmas_f64 v[80:81], v[80:81], v[206:207], v[214:215]
	s_mov_b32 vcc_lo, s1
	;; [unrolled: 2-line block ×4, first 2 shown]
	v_div_fmas_f64 v[196:197], v[196:197], v[198:199], v[220:221]
	v_fma_f64 v[198:199], v[102:103], v[90:91], v[210:211]
	v_add_f64 v[200:201], v[74:75], -v[222:223]
	v_div_fixup_f64 v[74:75], v[78:79], v[86:87], v[92:93]
	v_fma_f64 v[92:93], v[104:105], v[90:91], v[212:213]
	v_div_fixup_f64 v[78:79], v[80:81], v[86:87], v[194:195]
	v_div_fixup_f64 v[80:81], v[178:179], v[86:87], v[162:163]
	v_fma_f64 v[162:163], v[106:107], v[90:91], v[224:225]
	v_fma_f64 v[178:179], v[108:109], v[90:91], v[226:227]
	v_div_fixup_f64 v[82:83], v[180:181], v[86:87], v[82:83]
	v_div_fixup_f64 v[84:85], v[196:197], v[86:87], v[84:85]
	s_waitcnt vmcnt(5)
	v_fma_f64 v[70:71], v[154:155], v[186:187], v[70:71]
	v_fma_f64 v[180:181], v[74:75], v[200:201], v[182:183]
	;; [unrolled: 1-line block ×3, first 2 shown]
	s_waitcnt vmcnt(4)
	v_fma_f64 v[184:185], v[154:155], v[190:191], v[66:67]
	v_fma_f64 v[182:183], v[78:79], v[200:201], v[198:199]
	v_fma_f64 v[186:187], v[154:155], v[192:193], v[68:69]
	global_load_dwordx4 v[66:69], v[156:157], off offset:320
	v_fma_f64 v[92:93], v[80:81], v[200:201], v[92:93]
	v_fma_f64 v[162:163], v[82:83], v[200:201], v[162:163]
	;; [unrolled: 1-line block ×3, first 2 shown]
	v_add_f64 v[76:77], v[76:77], -v[180:181]
	v_add_f64 v[180:181], v[70:71], -v[182:183]
	;; [unrolled: 1-line block ×3, first 2 shown]
	global_load_dwordx4 v[70:73], v[156:157], off offset:336
	v_add_f64 v[162:163], v[184:185], -v[162:163]
	v_add_f64 v[178:179], v[186:187], -v[178:179]
	v_div_scale_f64 v[182:183], null, v[76:77], v[76:77], v[180:181]
	v_div_scale_f64 v[184:185], null, v[76:77], v[76:77], v[92:93]
	;; [unrolled: 1-line block ×4, first 2 shown]
	v_rcp_f64_e32 v[190:191], v[182:183]
	v_rcp_f64_e32 v[192:193], v[184:185]
	;; [unrolled: 1-line block ×4, first 2 shown]
	s_waitcnt vmcnt(5)
	v_fma_f64 v[208:209], v[154:155], v[158:159], v[62:63]
	v_fma_f64 v[160:161], v[154:155], v[160:161], v[64:65]
	global_load_dwordx4 v[62:65], v[156:157], off offset:352
	v_fma_f64 v[198:199], -v[182:183], v[190:191], 1.0
	v_fma_f64 v[202:203], -v[184:185], v[192:193], 1.0
	;; [unrolled: 1-line block ×4, first 2 shown]
	v_fma_f64 v[210:211], v[130:131], v[208:209], 0
	v_fma_f64 v[218:219], v[134:135], v[208:209], 0
	v_fma_f64 v[220:221], v[136:137], v[208:209], 0
	v_fma_f64 v[222:223], v[138:139], v[208:209], 0
	v_fma_f64 v[224:225], v[140:141], v[208:209], 0
	v_fma_f64 v[158:159], v[190:191], v[198:199], v[190:191]
	v_fma_f64 v[190:191], v[192:193], v[202:203], v[192:193]
	v_fma_f64 v[192:193], v[194:195], v[204:205], v[194:195]
	v_fma_f64 v[194:195], v[196:197], v[206:207], v[196:197]
	v_fma_f64 v[196:197], v[114:115], v[208:209], 0
	v_fma_f64 v[198:199], -v[182:183], v[158:159], 1.0
	v_fma_f64 v[202:203], -v[184:185], v[190:191], 1.0
	;; [unrolled: 1-line block ×4, first 2 shown]
	v_add_f64 v[196:197], v[160:161], -v[196:197]
	v_div_scale_f64 v[160:161], vcc_lo, v[180:181], v[76:77], v[180:181]
	v_fma_f64 v[198:199], v[158:159], v[198:199], v[158:159]
	v_div_scale_f64 v[158:159], s0, v[92:93], v[76:77], v[92:93]
	v_fma_f64 v[190:191], v[190:191], v[202:203], v[190:191]
	v_div_scale_f64 v[202:203], s1, v[162:163], v[76:77], v[162:163]
	;; [unrolled: 2-line block ×3, first 2 shown]
	v_fma_f64 v[194:195], v[194:195], v[206:207], v[194:195]
	v_fma_f64 v[206:207], v[94:95], v[196:197], v[210:211]
	s_waitcnt vmcnt(5)
	v_fma_f64 v[58:59], v[154:155], v[166:167], v[58:59]
	v_fma_f64 v[166:167], v[132:133], v[208:209], 0
	;; [unrolled: 1-line block ×3, first 2 shown]
	v_mul_f64 v[210:211], v[160:161], v[198:199]
	v_mul_f64 v[212:213], v[158:159], v[190:191]
	v_mul_f64 v[214:215], v[202:203], v[192:193]
	v_mul_f64 v[216:217], v[204:205], v[194:195]
	v_add_f64 v[206:207], v[58:59], -v[206:207]
	v_fma_f64 v[166:167], v[96:97], v[196:197], v[166:167]
	v_fma_f64 v[58:59], -v[182:183], v[210:211], v[160:161]
	v_fma_f64 v[182:183], -v[184:185], v[212:213], v[158:159]
	global_load_dwordx4 v[158:161], v[156:157], off offset:368
	v_fma_f64 v[184:185], -v[186:187], v[214:215], v[202:203]
	v_fma_f64 v[202:203], v[104:105], v[196:197], v[220:221]
	v_fma_f64 v[186:187], -v[188:189], v[216:217], v[204:205]
	v_fma_f64 v[188:189], v[102:103], v[196:197], v[218:219]
	v_fma_f64 v[204:205], v[106:107], v[196:197], v[222:223]
	;; [unrolled: 1-line block ×4, first 2 shown]
	v_div_fmas_f64 v[198:199], v[58:59], v[198:199], v[210:211]
	s_mov_b32 vcc_lo, s0
	global_load_dwordx4 v[58:61], v[156:157], off offset:384
	v_div_fmas_f64 v[182:183], v[182:183], v[190:191], v[212:213]
	s_mov_b32 vcc_lo, s1
	v_div_fmas_f64 v[184:185], v[184:185], v[192:193], v[214:215]
	s_mov_b32 vcc_lo, s2
	v_fma_f64 v[190:191], v[80:81], v[206:207], v[202:203]
	v_div_fmas_f64 v[186:187], v[186:187], v[194:195], v[216:217]
	v_fma_f64 v[188:189], v[78:79], v[206:207], v[188:189]
	v_add_f64 v[166:167], v[168:169], -v[166:167]
	v_div_fixup_f64 v[168:169], v[198:199], v[76:77], v[180:181]
	v_fma_f64 v[180:181], v[82:83], v[206:207], v[204:205]
	v_div_fixup_f64 v[92:93], v[182:183], v[76:77], v[92:93]
	v_fma_f64 v[182:183], v[84:85], v[206:207], v[218:219]
	v_div_fixup_f64 v[162:163], v[184:185], v[76:77], v[162:163]
	v_div_fixup_f64 v[178:179], v[186:187], v[76:77], v[178:179]
	s_waitcnt vmcnt(6)
	v_fma_f64 v[50:51], v[154:155], v[170:171], v[50:51]
	s_waitcnt vmcnt(5)
	v_fma_f64 v[54:55], v[154:155], v[174:175], v[54:55]
	v_fma_f64 v[56:57], v[154:155], v[176:177], v[56:57]
	;; [unrolled: 1-line block ×7, first 2 shown]
	v_add_f64 v[54:55], v[54:55], -v[174:175]
	v_add_f64 v[56:57], v[56:57], -v[176:177]
	;; [unrolled: 1-line block ×4, first 2 shown]
	global_load_dwordx4 v[50:53], v[156:157], off offset:400
	v_div_scale_f64 v[174:175], null, v[54:55], v[54:55], v[56:57]
	v_div_scale_f64 v[176:177], null, v[54:55], v[54:55], v[170:171]
	;; [unrolled: 1-line block ×3, first 2 shown]
	s_waitcnt vmcnt(5)
	v_fma_f64 v[66:67], v[154:155], v[66:67], v[46:47]
	v_fma_f64 v[48:49], v[154:155], v[68:69], v[48:49]
	v_rcp_f64_e32 v[46:47], v[174:175]
	v_rcp_f64_e32 v[182:183], v[176:177]
	;; [unrolled: 1-line block ×3, first 2 shown]
	v_fma_f64 v[68:69], v[114:115], v[66:67], 0
	v_fma_f64 v[192:193], v[130:131], v[66:67], 0
	s_waitcnt vmcnt(4)
	v_fma_f64 v[42:43], v[154:155], v[70:71], v[42:43]
	v_fma_f64 v[70:71], v[132:133], v[66:67], 0
	;; [unrolled: 1-line block ×6, first 2 shown]
	v_fma_f64 v[186:187], -v[174:175], v[46:47], 1.0
	v_fma_f64 v[188:189], -v[176:177], v[182:183], 1.0
	;; [unrolled: 1-line block ×3, first 2 shown]
	v_add_f64 v[68:69], v[48:49], -v[68:69]
	v_fma_f64 v[186:187], v[46:47], v[186:187], v[46:47]
	global_load_dwordx4 v[46:49], v[156:157], off offset:416
	v_fma_f64 v[182:183], v[182:183], v[188:189], v[182:183]
	v_fma_f64 v[184:185], v[184:185], v[190:191], v[184:185]
	;; [unrolled: 1-line block ×7, first 2 shown]
	v_fma_f64 v[190:191], -v[174:175], v[186:187], 1.0
	v_fma_f64 v[192:193], -v[176:177], v[182:183], 1.0
	s_waitcnt vmcnt(4)
	v_fma_f64 v[38:39], v[154:155], v[62:63], v[38:39]
	v_fma_f64 v[40:41], v[154:155], v[64:65], v[40:41]
	v_fma_f64 v[194:195], -v[180:181], v[184:185], 1.0
	v_add_f64 v[188:189], v[42:43], -v[188:189]
	v_div_scale_f64 v[42:43], vcc_lo, v[56:57], v[54:55], v[56:57]
	v_fma_f64 v[186:187], v[186:187], v[190:191], v[186:187]
	v_div_scale_f64 v[190:191], s0, v[170:171], v[54:55], v[170:171]
	v_fma_f64 v[182:183], v[182:183], v[192:193], v[182:183]
	v_div_scale_f64 v[192:193], s1, v[172:173], v[54:55], v[172:173]
	v_fma_f64 v[184:185], v[184:185], v[194:195], v[184:185]
	v_fma_f64 v[194:195], v[138:139], v[66:67], 0
	;; [unrolled: 1-line block ×5, first 2 shown]
	v_mul_f64 v[204:205], v[42:43], v[186:187]
	v_mul_f64 v[210:211], v[190:191], v[182:183]
	;; [unrolled: 1-line block ×3, first 2 shown]
	v_fma_f64 v[194:195], v[106:107], v[68:69], v[194:195]
	v_add_f64 v[70:71], v[44:45], -v[70:71]
	v_fma_f64 v[174:175], -v[174:175], v[204:205], v[42:43]
	global_load_dwordx4 v[42:45], v[156:157], off offset:432
	v_fma_f64 v[176:177], -v[176:177], v[210:211], v[190:191]
	v_fma_f64 v[190:191], v[84:85], v[188:189], v[202:203]
	v_fma_f64 v[180:181], -v[180:181], v[212:213], v[192:193]
	v_fma_f64 v[72:73], v[82:83], v[188:189], v[194:195]
	v_fma_f64 v[192:193], v[168:169], v[70:71], v[198:199]
	;; [unrolled: 1-line block ×3, first 2 shown]
	v_div_fmas_f64 v[174:175], v[174:175], v[186:187], v[204:205]
	s_mov_b32 vcc_lo, s0
	v_div_fmas_f64 v[176:177], v[176:177], v[182:183], v[210:211]
	s_mov_b32 vcc_lo, s1
	v_div_fmas_f64 v[180:181], v[180:181], v[184:185], v[212:213]
	v_fma_f64 v[72:73], v[162:163], v[70:71], v[72:73]
	v_add_f64 v[38:39], v[38:39], -v[192:193]
	v_div_fixup_f64 v[56:57], v[174:175], v[54:55], v[56:57]
	v_fma_f64 v[174:175], v[178:179], v[70:71], v[190:191]
	v_div_fixup_f64 v[170:171], v[176:177], v[54:55], v[170:171]
	v_div_fixup_f64 v[172:173], v[180:181], v[54:55], v[172:173]
	s_waitcnt vmcnt(4)
	v_fma_f64 v[30:31], v[154:155], v[158:159], v[30:31]
	v_fma_f64 v[32:33], v[154:155], v[160:161], v[32:33]
	;; [unrolled: 1-line block ×5, first 2 shown]
	s_waitcnt vmcnt(3)
	v_fma_f64 v[34:35], v[154:155], v[58:59], v[34:35]
	v_fma_f64 v[36:37], v[154:155], v[60:61], v[36:37]
	v_add_f64 v[40:41], v[40:41], -v[62:63]
	v_add_f64 v[30:31], v[30:31], -v[64:65]
	;; [unrolled: 1-line block ×3, first 2 shown]
	v_fma_f64 v[58:59], v[114:115], v[34:35], 0
	v_fma_f64 v[64:65], v[130:131], v[34:35], 0
	;; [unrolled: 1-line block ×4, first 2 shown]
	v_div_scale_f64 v[60:61], null, v[40:41], v[40:41], v[30:31]
	v_div_scale_f64 v[62:63], null, v[40:41], v[40:41], v[32:33]
	v_add_f64 v[36:37], v[36:37], -v[58:59]
	v_rcp_f64_e32 v[58:59], v[60:61]
	v_rcp_f64_e32 v[72:73], v[62:63]
	v_fma_f64 v[64:65], v[94:95], v[36:37], v[64:65]
	s_waitcnt vmcnt(2)
	v_fma_f64 v[26:27], v[154:155], v[50:51], v[26:27]
	v_fma_f64 v[50:51], v[132:133], v[34:35], 0
	;; [unrolled: 1-line block ×4, first 2 shown]
	v_fma_f64 v[158:159], -v[60:61], v[58:59], 1.0
	v_fma_f64 v[160:161], -v[62:63], v[72:73], 1.0
	v_add_f64 v[64:65], v[26:27], -v[64:65]
	v_fma_f64 v[50:51], v[96:97], v[36:37], v[50:51]
	v_fma_f64 v[52:53], v[104:105], v[36:37], v[52:53]
	;; [unrolled: 1-line block ×8, first 2 shown]
	v_fma_f64 v[158:159], -v[60:61], v[26:27], 1.0
	v_fma_f64 v[160:161], -v[62:63], v[58:59], 1.0
	v_fma_f64 v[72:73], v[78:79], v[64:65], v[72:73]
	v_add_f64 v[50:51], v[28:29], -v[50:51]
	v_div_scale_f64 v[28:29], vcc_lo, v[30:31], v[40:41], v[30:31]
	v_fma_f64 v[26:27], v[26:27], v[158:159], v[26:27]
	v_div_scale_f64 v[158:159], s0, v[32:33], v[40:41], v[32:33]
	v_fma_f64 v[58:59], v[58:59], v[160:161], v[58:59]
	v_fma_f64 v[160:161], v[108:109], v[36:37], v[176:177]
	s_waitcnt vmcnt(1)
	v_fma_f64 v[22:23], v[154:155], v[46:47], v[22:23]
	v_fma_f64 v[46:47], v[106:107], v[36:37], v[174:175]
	;; [unrolled: 1-line block ×5, first 2 shown]
	v_mul_f64 v[174:175], v[28:29], v[26:27]
	v_mul_f64 v[176:177], v[158:159], v[58:59]
	v_fma_f64 v[160:161], v[84:85], v[64:65], v[160:161]
	v_fma_f64 v[46:47], v[82:83], v[64:65], v[46:47]
	v_add_f64 v[72:73], v[22:23], -v[72:73]
	v_fma_f64 v[22:23], -v[60:61], v[174:175], v[28:29]
	v_fma_f64 v[28:29], -v[62:63], v[176:177], v[158:159]
	v_fma_f64 v[48:49], v[178:179], v[50:51], v[160:161]
	v_fma_f64 v[46:47], v[162:163], v[50:51], v[46:47]
	;; [unrolled: 1-line block ×3, first 2 shown]
	v_div_fmas_f64 v[22:23], v[22:23], v[26:27], v[174:175]
	s_mov_b32 vcc_lo, s0
	v_div_fmas_f64 v[26:27], v[28:29], v[58:59], v[176:177]
	v_fma_f64 v[28:29], v[170:171], v[72:73], v[46:47]
	v_fma_f64 v[46:47], v[172:173], v[72:73], v[48:49]
	v_add_f64 v[48:49], v[24:25], -v[52:53]
	v_div_fixup_f64 v[52:53], v[22:23], v[40:41], v[30:31]
	v_div_fixup_f64 v[58:59], v[26:27], v[40:41], v[32:33]
	s_waitcnt vmcnt(0)
	v_fma_f64 v[18:19], v[154:155], v[42:43], v[18:19]
	v_fma_f64 v[20:21], v[154:155], v[44:45], v[20:21]
	v_fma_f64 v[22:23], v[52:53], v[48:49], v[28:29]
	v_fma_f64 v[24:25], v[58:59], v[48:49], v[46:47]
	v_add_f64 v[42:43], v[18:19], -v[22:23]
	v_add_f64 v[44:45], v[20:21], -v[24:25]
	v_div_scale_f64 v[20:21], null, v[142:143], v[142:143], v[126:127]
	v_div_scale_f64 v[18:19], null, v[42:43], v[42:43], v[44:45]
	v_rcp_f64_e32 v[24:25], v[20:21]
	v_div_scale_f64 v[30:31], vcc_lo, v[44:45], v[42:43], v[44:45]
	v_rcp_f64_e32 v[22:23], v[18:19]
	v_fma_f64 v[28:29], -v[20:21], v[24:25], 1.0
	v_fma_f64 v[26:27], -v[18:19], v[22:23], 1.0
	v_fma_f64 v[24:25], v[24:25], v[28:29], v[24:25]
	v_fma_f64 v[22:23], v[22:23], v[26:27], v[22:23]
	v_fma_f64 v[28:29], -v[20:21], v[24:25], 1.0
	v_fma_f64 v[26:27], -v[18:19], v[22:23], 1.0
	v_fma_f64 v[24:25], v[24:25], v[28:29], v[24:25]
	v_fma_f64 v[22:23], v[22:23], v[26:27], v[22:23]
	v_div_scale_f64 v[26:27], s0, v[126:127], v[142:143], v[126:127]
	v_mul_f64 v[28:29], v[30:31], v[22:23]
	v_mul_f64 v[32:33], v[26:27], v[24:25]
	v_fma_f64 v[18:19], -v[18:19], v[28:29], v[30:31]
	v_fma_f64 v[20:21], -v[20:21], v[32:33], v[26:27]
	v_div_fmas_f64 v[46:47], v[18:19], v[22:23], v[28:29]
	s_mov_b32 vcc_lo, s0
	v_add_co_u32 v148, s0, 0x200, v148
	v_div_fmas_f64 v[18:19], v[20:21], v[24:25], v[32:33]
	v_add_co_ci_u32_e64 v149, null, 0, v149, s0
	v_div_fixup_f64 v[60:61], v[18:19], v[142:143], v[126:127]
	v_fma_f64 v[18:19], v[60:61], v[144:145], 0
	v_fma_f64 v[28:29], v[60:61], v[208:209], 0
	;; [unrolled: 1-line block ×4, first 2 shown]
	v_add_f64 v[18:19], v[128:129], -v[18:19]
	v_div_scale_f64 v[20:21], null, v[110:111], v[110:111], v[18:19]
	v_div_scale_f64 v[26:27], vcc_lo, v[18:19], v[110:111], v[18:19]
	v_rcp_f64_e32 v[22:23], v[20:21]
	v_fma_f64 v[24:25], -v[20:21], v[22:23], 1.0
	v_fma_f64 v[22:23], v[22:23], v[24:25], v[22:23]
	v_fma_f64 v[24:25], -v[20:21], v[22:23], 1.0
	v_fma_f64 v[22:23], v[22:23], v[24:25], v[22:23]
	v_mul_f64 v[24:25], v[26:27], v[22:23]
	v_fma_f64 v[20:21], -v[20:21], v[24:25], v[26:27]
	v_div_fmas_f64 v[20:21], v[20:21], v[22:23], v[24:25]
	v_fma_f64 v[22:23], v[60:61], v[112:113], 0
	v_div_fixup_f64 v[62:63], v[20:21], v[110:111], v[18:19]
	v_fma_f64 v[18:19], v[62:63], v[116:117], v[22:23]
	v_fma_f64 v[30:31], v[62:63], v[68:69], v[30:31]
	;; [unrolled: 1-line block ×3, first 2 shown]
	v_add_f64 v[18:19], v[122:123], -v[18:19]
	v_div_scale_f64 v[20:21], null, v[86:87], v[86:87], v[18:19]
	v_div_scale_f64 v[26:27], vcc_lo, v[18:19], v[86:87], v[18:19]
	v_rcp_f64_e32 v[22:23], v[20:21]
	v_fma_f64 v[24:25], -v[20:21], v[22:23], 1.0
	v_fma_f64 v[22:23], v[22:23], v[24:25], v[22:23]
	v_fma_f64 v[24:25], -v[20:21], v[22:23], 1.0
	v_fma_f64 v[22:23], v[22:23], v[24:25], v[22:23]
	v_mul_f64 v[24:25], v[26:27], v[22:23]
	v_fma_f64 v[20:21], -v[20:21], v[24:25], v[26:27]
	v_fma_f64 v[26:27], v[60:61], v[88:89], 0
	v_div_fmas_f64 v[20:21], v[20:21], v[22:23], v[24:25]
	v_fma_f64 v[22:23], v[62:63], v[90:91], v[26:27]
	v_div_fixup_f64 v[86:87], v[20:21], v[86:87], v[18:19]
	v_fma_f64 v[18:19], v[86:87], v[200:201], v[22:23]
	v_fma_f64 v[34:35], v[86:87], v[64:65], v[34:35]
	v_add_f64 v[18:19], v[124:125], -v[18:19]
	v_div_scale_f64 v[20:21], null, v[76:77], v[76:77], v[18:19]
	v_div_scale_f64 v[26:27], vcc_lo, v[18:19], v[76:77], v[18:19]
	v_rcp_f64_e32 v[22:23], v[20:21]
	v_fma_f64 v[24:25], -v[20:21], v[22:23], 1.0
	v_fma_f64 v[22:23], v[22:23], v[24:25], v[22:23]
	v_fma_f64 v[24:25], -v[20:21], v[22:23], 1.0
	v_fma_f64 v[22:23], v[22:23], v[24:25], v[22:23]
	v_mul_f64 v[24:25], v[26:27], v[22:23]
	v_fma_f64 v[20:21], -v[20:21], v[24:25], v[26:27]
	v_fma_f64 v[26:27], v[62:63], v[196:197], v[28:29]
	v_div_fmas_f64 v[20:21], v[20:21], v[22:23], v[24:25]
	v_fma_f64 v[22:23], v[86:87], v[206:207], v[26:27]
	v_div_fixup_f64 v[76:77], v[20:21], v[76:77], v[18:19]
	v_fma_f64 v[18:19], v[76:77], v[166:167], v[22:23]
	v_fma_f64 v[34:35], v[76:77], v[50:51], v[34:35]
	v_add_f64 v[22:23], v[118:119], -v[18:19]
	v_div_scale_f64 v[24:25], null, v[54:55], v[54:55], v[22:23]
	v_div_scale_f64 v[26:27], vcc_lo, v[22:23], v[54:55], v[22:23]
	v_rcp_f64_e32 v[18:19], v[24:25]
	v_fma_f64 v[20:21], -v[24:25], v[18:19], 1.0
	v_fma_f64 v[18:19], v[18:19], v[20:21], v[18:19]
	v_fma_f64 v[20:21], -v[24:25], v[18:19], 1.0
	v_fma_f64 v[28:29], v[18:19], v[20:21], v[18:19]
	global_load_dwordx4 v[18:21], v[156:157], off offset:448
	v_mul_f64 v[32:33], v[26:27], v[28:29]
	v_fma_f64 v[24:25], -v[24:25], v[32:33], v[26:27]
	v_fma_f64 v[26:27], v[86:87], v[188:189], v[30:31]
	v_div_fmas_f64 v[24:25], v[24:25], v[28:29], v[32:33]
	v_fma_f64 v[26:27], v[76:77], v[70:71], v[26:27]
	v_div_fixup_f64 v[54:55], v[24:25], v[54:55], v[22:23]
	global_load_dwordx4 v[22:25], v[156:157], off offset:464
	v_fma_f64 v[26:27], v[54:55], v[38:39], v[26:27]
	v_add_f64 v[38:39], v[120:121], -v[26:27]
	global_load_dwordx4 v[26:29], v[156:157], off offset:480
	v_div_scale_f64 v[66:67], null, v[40:41], v[40:41], v[38:39]
	v_div_scale_f64 v[68:69], vcc_lo, v[38:39], v[40:41], v[38:39]
	v_rcp_f64_e32 v[30:31], v[66:67]
	v_fma_f64 v[32:33], -v[66:67], v[30:31], 1.0
	v_fma_f64 v[30:31], v[30:31], v[32:33], v[30:31]
	v_fma_f64 v[32:33], -v[66:67], v[30:31], 1.0
	v_fma_f64 v[70:71], v[30:31], v[32:33], v[30:31]
	global_load_dwordx4 v[30:33], v[156:157], off offset:496
	v_mul_f64 v[36:37], v[68:69], v[70:71]
	v_fma_f64 v[64:65], -v[66:67], v[36:37], v[68:69]
	s_waitcnt vmcnt(3)
	v_fma_f64 v[14:15], v[154:155], v[18:19], v[14:15]
	v_fma_f64 v[18:19], v[54:55], v[72:73], v[34:35]
	;; [unrolled: 1-line block ×3, first 2 shown]
	v_div_fmas_f64 v[36:37], v[64:65], v[70:71], v[36:37]
	v_fma_f64 v[20:21], v[114:115], v[14:15], 0
	v_div_fixup_f64 v[34:35], v[36:37], v[40:41], v[38:39]
	v_fma_f64 v[36:37], v[130:131], v[14:15], 0
	v_fma_f64 v[38:39], v[134:135], v[14:15], 0
	v_add_f64 v[16:17], v[16:17], -v[20:21]
	v_fma_f64 v[20:21], v[132:133], v[14:15], 0
	v_fma_f64 v[18:19], v[34:35], v[48:49], v[18:19]
	;; [unrolled: 1-line block ×5, first 2 shown]
	v_add_f64 v[18:19], v[98:99], -v[18:19]
	s_waitcnt vmcnt(2)
	v_fma_f64 v[10:11], v[154:155], v[22:23], v[10:11]
	v_fma_f64 v[22:23], v[94:95], v[16:17], v[36:37]
	;; [unrolled: 1-line block ×4, first 2 shown]
	v_div_scale_f64 v[36:37], null, v[42:43], v[42:43], v[18:19]
	v_add_f64 v[10:11], v[10:11], -v[22:23]
	v_fma_f64 v[24:25], v[104:105], v[16:17], v[24:25]
	v_rcp_f64_e32 v[22:23], v[36:37]
	s_waitcnt vmcnt(1)
	v_fma_f64 v[6:7], v[154:155], v[26:27], v[6:7]
	v_fma_f64 v[20:21], v[74:75], v[10:11], v[20:21]
	;; [unrolled: 1-line block ×6, first 2 shown]
	v_fma_f64 v[40:41], -v[36:37], v[22:23], 1.0
	v_add_f64 v[12:13], v[12:13], -v[20:21]
	v_fma_f64 v[26:27], v[82:83], v[10:11], v[26:27]
	v_fma_f64 v[20:21], v[22:23], v[40:41], v[22:23]
	;; [unrolled: 1-line block ×7, first 2 shown]
	v_fma_f64 v[40:41], -v[36:37], v[20:21], 1.0
	v_fma_f64 v[22:23], v[108:109], v[16:17], v[22:23]
	v_fma_f64 v[14:15], v[62:63], v[16:17], v[14:15]
	v_div_scale_f64 v[16:17], vcc_lo, v[18:19], v[42:43], v[18:19]
	v_add_f64 v[6:7], v[6:7], -v[38:39]
	v_fma_f64 v[20:21], v[20:21], v[40:41], v[20:21]
	v_fma_f64 v[22:23], v[84:85], v[10:11], v[22:23]
	;; [unrolled: 1-line block ×5, first 2 shown]
	v_mul_f64 v[14:15], v[16:17], v[20:21]
	v_fma_f64 v[22:23], v[178:179], v[12:13], v[22:23]
	v_fma_f64 v[10:11], v[76:77], v[12:13], v[10:11]
	v_add_f64 v[8:9], v[8:9], -v[24:25]
	v_fma_f64 v[12:13], -v[36:37], v[14:15], v[16:17]
	v_fma_f64 v[16:17], v[172:173], v[6:7], v[22:23]
	v_fma_f64 v[6:7], v[54:55], v[6:7], v[10:11]
	v_fma_f64 v[22:23], v[52:53], v[8:9], v[26:27]
	s_waitcnt vmcnt(0)
	v_fma_f64 v[2:3], v[154:155], v[30:31], v[2:3]
	v_fma_f64 v[4:5], v[154:155], v[32:33], v[4:5]
	v_div_fmas_f64 v[10:11], v[12:13], v[20:21], v[14:15]
	v_fma_f64 v[12:13], v[58:59], v[8:9], v[16:17]
	v_div_fixup_f64 v[14:15], v[46:47], v[42:43], v[44:45]
	v_fma_f64 v[6:7], v[34:35], v[8:9], v[6:7]
	v_add_f64 v[2:3], v[2:3], -v[22:23]
	v_div_fixup_f64 v[8:9], v[10:11], v[42:43], v[18:19]
	v_fma_f64 v[10:11], v[14:15], v[2:3], v[12:13]
	v_fma_f64 v[2:3], v[8:9], v[2:3], v[6:7]
	v_add_f64 v[4:5], v[4:5], -v[10:11]
	v_add_f64 v[2:3], v[100:101], -v[2:3]
	v_div_scale_f64 v[6:7], null, v[4:5], v[4:5], v[2:3]
	v_rcp_f64_e32 v[10:11], v[6:7]
	v_fma_f64 v[12:13], -v[6:7], v[10:11], 1.0
	v_fma_f64 v[10:11], v[10:11], v[12:13], v[10:11]
	v_fma_f64 v[12:13], -v[6:7], v[10:11], 1.0
	v_fma_f64 v[10:11], v[10:11], v[12:13], v[10:11]
	v_div_scale_f64 v[12:13], vcc_lo, v[2:3], v[4:5], v[2:3]
	v_mul_f64 v[16:17], v[12:13], v[10:11]
	v_fma_f64 v[6:7], -v[6:7], v[16:17], v[12:13]
	v_div_fmas_f64 v[6:7], v[6:7], v[10:11], v[16:17]
	v_add_co_u32 v18, vcc_lo, s36, v152
	v_add_co_ci_u32_e64 v19, null, s46, v153, vcc_lo
	v_add_co_u32 v150, vcc_lo, v150, 64
	v_add_co_ci_u32_e64 v151, null, 0, v151, vcc_lo
	v_cmp_le_i64_e32 vcc_lo, s[34:35], v[150:151]
	s_or_b32 s45, vcc_lo, s45
	v_div_fixup_f64 v[4:5], v[6:7], v[4:5], v[2:3]
	v_fma_f64 v[2:3], v[14:15], v[4:5], 0
	v_add_f64 v[2:3], v[8:9], -v[2:3]
	v_fma_f64 v[6:7], v[52:53], v[2:3], 0
	global_store_dwordx4 v[18:19], v[2:5], off offset:48
	v_fma_f64 v[6:7], v[58:59], v[4:5], v[6:7]
	v_add_f64 v[8:9], v[34:35], -v[6:7]
	v_fma_f64 v[6:7], v[56:57], v[8:9], 0
	v_fma_f64 v[6:7], v[170:171], v[2:3], v[6:7]
	;; [unrolled: 1-line block ×3, first 2 shown]
	v_add_f64 v[6:7], v[54:55], -v[6:7]
	v_fma_f64 v[10:11], v[168:169], v[6:7], 0
	global_store_dwordx4 v[18:19], v[6:9], off offset:32
	v_fma_f64 v[10:11], v[92:93], v[8:9], v[10:11]
	v_fma_f64 v[10:11], v[162:163], v[2:3], v[10:11]
	;; [unrolled: 1-line block ×3, first 2 shown]
	v_add_f64 v[12:13], v[76:77], -v[10:11]
	v_fma_f64 v[10:11], v[74:75], v[12:13], 0
	v_fma_f64 v[10:11], v[78:79], v[6:7], v[10:11]
	;; [unrolled: 1-line block ×5, first 2 shown]
	v_add_f64 v[10:11], v[86:87], -v[10:11]
	v_fma_f64 v[14:15], v[94:95], v[10:11], 0
	v_fma_f64 v[14:15], v[96:97], v[12:13], v[14:15]
	;; [unrolled: 1-line block ×6, first 2 shown]
	v_add_f64 v[16:17], v[62:63], -v[14:15]
	v_fma_f64 v[14:15], v[114:115], v[16:17], 0
	v_fma_f64 v[14:15], v[130:131], v[10:11], v[14:15]
	;; [unrolled: 1-line block ×7, first 2 shown]
	v_add_f64 v[14:15], v[60:61], -v[14:15]
	global_store_dwordx4 v[18:19], v[10:13], off offset:16
	global_store_dwordx4 v[18:19], v[14:17], off
	s_andn2_b32 exec_lo, exec_lo, s45
	s_cbranch_execz .LBB1_6
.LBB1_10:                               ;   Parent Loop BB1_7 Depth=1
                                        ; =>  This Inner Loop Header: Depth=2
	global_load_dwordx2 v[154:155], v[148:149], off
	s_waitcnt vmcnt(0)
	v_mad_u64_u32 v[158:159], null, v154, 48, s[14:15]
	v_mul_lo_u32 v6, v155, 48
	v_lshlrev_b64 v[152:153], 6, v[154:155]
	v_lshlrev_b64 v[156:157], 9, v[154:155]
	v_mad_u64_u32 v[160:161], null, v154, 48, s[18:19]
	v_add_co_u32 v4, vcc_lo, s39, v152
	v_add_nc_u32_e32 v159, v6, v159
	v_add_co_ci_u32_e64 v5, null, s40, v153, vcc_lo
	v_add_co_u32 v14, vcc_lo, s41, v156
	global_load_dwordx2 v[2:3], v[158:159], off
	v_add_co_ci_u32_e64 v15, null, s42, v157, vcc_lo
	s_clause 0x3
	global_load_dwordx4 v[98:101], v[4:5], off offset:48
	global_load_dwordx4 v[118:121], v[4:5], off offset:32
	;; [unrolled: 1-line block ×3, first 2 shown]
	global_load_dwordx4 v[126:129], v[4:5], off
	s_clause 0x11
	global_load_dwordx4 v[130:133], v[14:15], off offset:48
	global_load_dwordx4 v[134:137], v[14:15], off offset:32
	;; [unrolled: 1-line block ×3, first 2 shown]
	global_load_dwordx4 v[142:145], v[14:15], off
	global_load_dwordx4 v[102:105], v[14:15], off offset:112
	global_load_dwordx4 v[106:109], v[14:15], off offset:96
	;; [unrolled: 1-line block ×14, first 2 shown]
	v_add_nc_u32_e32 v161, v6, v161
	s_waitcnt vmcnt(22)
	v_lshlrev_b64 v[2:3], 3, v[2:3]
	v_add_co_u32 v2, vcc_lo, s12, v2
	v_add_co_ci_u32_e64 v3, null, s13, v3, vcc_lo
	s_clause 0x3
	global_load_dwordx4 v[58:61], v[14:15], off offset:272
	global_load_dwordx4 v[62:65], v[14:15], off offset:256
	global_load_dwordx4 v[30:33], v[14:15], off offset:368
	global_load_dwordx4 v[38:41], v[14:15], off offset:352
	global_load_dwordx2 v[166:167], v[160:161], off
	global_load_dwordx2 v[162:163], v[2:3], off
	s_clause 0x9
	global_load_dwordx4 v[42:45], v[14:15], off offset:336
	global_load_dwordx4 v[46:49], v[14:15], off offset:320
	global_load_dwordx4 v[18:21], v[14:15], off offset:432
	global_load_dwordx4 v[22:25], v[14:15], off offset:416
	global_load_dwordx4 v[26:29], v[14:15], off offset:400
	global_load_dwordx4 v[34:37], v[14:15], off offset:384
	global_load_dwordx4 v[2:5], v[14:15], off offset:496
	global_load_dwordx4 v[6:9], v[14:15], off offset:480
	global_load_dwordx4 v[10:13], v[14:15], off offset:464
	global_load_dwordx4 v[14:17], v[14:15], off offset:448
	s_waitcnt vmcnt(11)
	v_cmp_ne_u64_e32 vcc_lo, 0, v[166:167]
	s_waitcnt vmcnt(10)
	v_cmp_lt_i64_e64 s0, -1, v[162:163]
	s_and_b32 s0, s0, vcc_lo
	s_and_saveexec_b32 s49, s0
	s_cbranch_execz .LBB1_12
; %bb.11:                               ;   in Loop: Header=BB1_10 Depth=2
	v_lshlrev_b64 v[178:179], 5, v[162:163]
	v_lshlrev_b64 v[162:163], 8, v[162:163]
	v_add_co_u32 v166, vcc_lo, s16, v178
	v_add_co_ci_u32_e64 v167, null, s17, v179, vcc_lo
	global_load_dwordx2 v[166:167], v[166:167], off
	s_waitcnt vmcnt(0)
	v_ashrrev_i32_e32 v168, 31, v167
	v_lshrrev_b32_e32 v168, 29, v168
	v_add_co_u32 v166, vcc_lo, v166, v168
	v_add_co_ci_u32_e64 v167, null, 0, v167, vcc_lo
	v_ashrrev_i64 v[166:167], 3, v[166:167]
	v_cmp_eq_u64_e32 vcc_lo, v[154:155], v[166:167]
	v_mov_b32_e32 v166, s20
	v_mov_b32_e32 v167, s21
	v_cndmask_b32_e32 v166, s16, v166, vcc_lo
	v_cndmask_b32_e32 v167, s17, v167, vcc_lo
	v_cndmask_b32_e64 v174, 0, 0x80, vcc_lo
	v_add_co_u32 v170, s0, v166, v178
	v_add_co_ci_u32_e64 v171, null, v167, v179, s0
	v_add_co_u32 v174, s0, s22, v174
	v_add_co_ci_u32_e64 v175, null, s23, 0, s0
	s_clause 0x1
	global_load_dwordx4 v[166:169], v[170:171], off
	global_load_dwordx4 v[170:173], v[170:171], off offset:16
	v_add_co_u32 v162, s0, v174, v162
	v_add_co_ci_u32_e64 v163, null, v175, v163, s0
	v_add_co_u32 v162, s0, v162, s24
	v_add_co_ci_u32_e64 v163, null, s25, v163, s0
	global_load_dwordx4 v[174:177], v[162:163], off
	s_waitcnt vmcnt(2)
	v_lshlrev_b64 v[166:167], 3, v[166:167]
	s_waitcnt vmcnt(1)
	v_lshlrev_b64 v[170:171], 3, v[170:171]
	v_add_co_u32 v166, s0, s47, v166
	v_add_co_ci_u32_e64 v167, null, s48, v167, s0
	global_load_dwordx2 v[206:207], v[166:167], off
	v_mov_b32_e32 v166, s16
	v_mov_b32_e32 v167, s17
	v_cndmask_b32_e32 v180, s20, v166, vcc_lo
	v_cndmask_b32_e32 v181, s21, v167, vcc_lo
	v_lshlrev_b64 v[166:167], 3, v[168:169]
	v_add_co_u32 v190, vcc_lo, v180, v178
	v_add_co_ci_u32_e64 v191, null, v181, v179, vcc_lo
	v_add_co_u32 v182, vcc_lo, s47, v166
	v_add_co_ci_u32_e64 v183, null, s48, v167, vcc_lo
	global_load_dwordx4 v[166:169], v[190:191], off
	global_load_dwordx4 v[178:181], v[162:163], off offset:16
	global_load_dwordx2 v[208:209], v[182:183], off
	v_add_co_u32 v170, vcc_lo, s47, v170
	v_add_co_ci_u32_e64 v171, null, s48, v171, vcc_lo
	global_load_dwordx4 v[182:185], v[162:163], off offset:32
	global_load_dwordx2 v[210:211], v[170:171], off
	v_lshlrev_b64 v[170:171], 3, v[172:173]
	v_add_co_u32 v170, vcc_lo, s47, v170
	v_add_co_ci_u32_e64 v171, null, s48, v171, vcc_lo
	global_load_dwordx2 v[212:213], v[170:171], off
	s_clause 0x1
	global_load_dwordx4 v[170:173], v[162:163], off offset:48
	global_load_dwordx4 v[186:189], v[162:163], off offset:64
	;; [unrolled: 1-line block ×3, first 2 shown]
	s_clause 0x2
	global_load_dwordx4 v[194:197], v[162:163], off offset:80
	global_load_dwordx4 v[198:201], v[162:163], off offset:96
	;; [unrolled: 1-line block ×3, first 2 shown]
	s_waitcnt vmcnt(13)
	v_mul_f64 v[162:163], v[146:147], v[174:175]
	v_mul_f64 v[174:175], v[146:147], v[176:177]
	s_waitcnt vmcnt(12)
	v_fma_f64 v[162:163], v[162:163], v[206:207], 0
	s_waitcnt vmcnt(11)
	v_ashrrev_i32_e32 v214, 31, v167
	s_waitcnt vmcnt(10)
	v_mul_f64 v[176:177], v[146:147], v[178:179]
	v_mul_f64 v[178:179], v[146:147], v[180:181]
	s_waitcnt vmcnt(9)
	v_fma_f64 v[162:163], v[174:175], v[208:209], v[162:163]
	v_lshrrev_b32_e32 v174, 29, v214
	v_add_co_u32 v174, vcc_lo, v166, v174
	v_add_co_ci_u32_e64 v175, null, 0, v167, vcc_lo
	v_and_b32_e32 v174, -8, v174
	s_waitcnt vmcnt(5)
	v_mul_f64 v[170:171], v[146:147], v[170:171]
	v_mul_f64 v[172:173], v[146:147], v[172:173]
	v_sub_co_u32 v166, vcc_lo, v166, v174
	v_sub_co_ci_u32_e64 v167, null, v167, v175, vcc_lo
	v_mul_f64 v[174:175], v[146:147], v[182:183]
	v_fma_f64 v[162:163], v[176:177], v[210:211], v[162:163]
	v_cmp_eq_u64_e32 vcc_lo, 1, v[166:167]
	v_cmp_eq_u64_e64 s0, 2, v[166:167]
	v_cmp_eq_u64_e64 s1, 3, v[166:167]
	;; [unrolled: 1-line block ×5, first 2 shown]
	v_cndmask_b32_e32 v176, v127, v129, vcc_lo
	v_cndmask_b32_e32 v177, v126, v128, vcc_lo
	v_cmp_eq_u64_e64 s5, 7, v[166:167]
	v_cndmask_b32_e64 v180, v176, v123, s0
	v_cndmask_b32_e64 v181, v177, v122, s0
	v_mul_f64 v[176:177], v[146:147], v[184:185]
	v_cndmask_b32_e64 v180, v180, v125, s1
	v_cndmask_b32_e64 v181, v181, v124, s1
	v_fma_f64 v[174:175], v[206:207], v[174:175], 0
	v_fma_f64 v[162:163], v[178:179], v[212:213], v[162:163]
	v_cndmask_b32_e64 v178, v180, v119, s2
	v_cndmask_b32_e64 v179, v181, v118, s2
	v_ashrrev_i32_e32 v181, 31, v169
	v_cndmask_b32_e64 v178, v178, v121, s3
	v_cndmask_b32_e64 v179, v179, v120, s3
	;; [unrolled: 1-line block ×6, first 2 shown]
	v_lshrrev_b32_e32 v180, 29, v181
	v_fma_f64 v[174:175], v[208:209], v[176:177], v[174:175]
	v_add_f64 v[162:163], v[178:179], -v[162:163]
	v_add_co_u32 v176, s6, v168, v180
	v_add_co_ci_u32_e64 v177, null, 0, v169, s6
	v_and_b32_e32 v176, -8, v176
	v_sub_co_u32 v168, s6, v168, v176
	v_sub_co_ci_u32_e64 v169, null, v169, v177, s6
	s_waitcnt vmcnt(4)
	v_mul_f64 v[176:177], v[146:147], v[186:187]
	v_cmp_eq_u64_e64 s6, 0, v[166:167]
	v_mul_f64 v[166:167], v[146:147], v[188:189]
	v_cmp_eq_u64_e64 s7, 1, v[168:169]
	v_cmp_eq_u64_e64 s8, 2, v[168:169]
	v_fma_f64 v[170:171], v[210:211], v[170:171], v[174:175]
	v_cmp_eq_u64_e64 s9, 3, v[168:169]
	v_cndmask_b32_e64 v174, v126, v162, s6
	v_cndmask_b32_e32 v129, v129, v163, vcc_lo
	v_cndmask_b32_e64 v175, v127, v163, s6
	v_cndmask_b32_e32 v128, v128, v162, vcc_lo
	v_cndmask_b32_e64 v178, v122, v162, s0
	v_cndmask_b32_e64 v179, v123, v163, s0
	;; [unrolled: 1-line block ×6, first 2 shown]
	v_cmp_eq_u64_e32 vcc_lo, 4, v[168:169]
	v_cmp_eq_u64_e64 s0, 5, v[168:169]
	v_cndmask_b32_e64 v124, v122, v179, s8
	v_cndmask_b32_e64 v125, v123, v178, s8
	v_cmp_eq_u64_e64 s1, 6, v[168:169]
	v_fma_f64 v[122:123], v[206:207], v[176:177], 0
	v_cndmask_b32_e64 v176, v118, v162, s2
	v_cndmask_b32_e64 v177, v119, v163, s2
	;; [unrolled: 1-line block ×4, first 2 shown]
	v_fma_f64 v[118:119], v[212:213], v[172:173], v[170:171]
	v_cndmask_b32_e64 v170, v120, v162, s3
	v_cndmask_b32_e64 v171, v121, v163, s3
	v_cndmask_b32_e32 v120, v124, v177, vcc_lo
	v_cndmask_b32_e32 v121, v125, v176, vcc_lo
	v_cndmask_b32_e64 v172, v98, v162, s4
	v_cndmask_b32_e64 v173, v99, v163, s4
	v_cmp_eq_u64_e64 s2, 7, v[168:169]
	v_cndmask_b32_e64 v98, v120, v171, s0
	v_cndmask_b32_e64 v99, v121, v170, s0
	;; [unrolled: 1-line block ×4, first 2 shown]
	s_waitcnt vmcnt(3)
	v_ashrrev_i32_e32 v101, 31, v191
	v_cndmask_b32_e64 v98, v98, v173, s1
	v_cndmask_b32_e64 v100, v99, v172, s1
	s_waitcnt vmcnt(1)
	v_mul_f64 v[126:127], v[146:147], v[200:201]
	v_lshrrev_b32_e32 v124, 29, v101
	v_cndmask_b32_e64 v99, v98, v163, s2
	v_cndmask_b32_e64 v98, v100, v162, s2
	v_mul_f64 v[100:101], v[146:147], v[194:195]
	v_fma_f64 v[120:121], v[208:209], v[166:167], v[122:123]
	v_mul_f64 v[122:123], v[146:147], v[198:199]
	v_add_f64 v[98:99], v[98:99], -v[118:119]
	v_add_co_u32 v118, s3, v190, v124
	v_add_co_ci_u32_e64 v119, null, 0, v191, s3
	v_mul_f64 v[124:125], v[146:147], v[196:197]
	v_and_b32_e32 v118, -8, v118
	v_sub_co_u32 v118, s3, v190, v118
	v_sub_co_ci_u32_e64 v119, null, v191, v119, s3
	v_cmp_eq_u64_e64 s3, 0, v[168:169]
	v_cmp_eq_u64_e64 s4, 1, v[118:119]
	v_fma_f64 v[100:101], v[210:211], v[100:101], v[120:121]
	v_cmp_eq_u64_e64 s5, 2, v[118:119]
	v_cmp_eq_u64_e64 s6, 3, v[118:119]
	v_cndmask_b32_e64 v166, v174, v98, s3
	v_cndmask_b32_e64 v129, v129, v99, s7
	v_cndmask_b32_e64 v167, v175, v99, s3
	v_cndmask_b32_e64 v128, v128, v98, s7
	v_cndmask_b32_e64 v168, v178, v98, s8
	v_cndmask_b32_e64 v169, v179, v99, s8
	v_cndmask_b32_e64 v174, v180, v98, s9
	v_cndmask_b32_e64 v120, v167, v129, s4
	v_cndmask_b32_e64 v121, v166, v128, s4
	v_cndmask_b32_e64 v175, v181, v99, s9
	v_cmp_eq_u64_e64 s3, 4, v[118:119]
	v_cndmask_b32_e32 v176, v176, v98, vcc_lo
	v_cndmask_b32_e64 v178, v120, v169, s5
	v_cndmask_b32_e64 v179, v121, v168, s5
	v_fma_f64 v[120:121], v[206:207], v[122:123], 0
	v_cndmask_b32_e32 v177, v177, v99, vcc_lo
	v_cmp_eq_u64_e64 s7, 5, v[118:119]
	v_cndmask_b32_e64 v122, v178, v175, s6
	v_cndmask_b32_e64 v123, v179, v174, s6
	v_fma_f64 v[100:101], v[212:213], v[124:125], v[100:101]
	v_cndmask_b32_e64 v124, v170, v98, s0
	v_cndmask_b32_e64 v125, v171, v99, s0
	v_cndmask_b32_e64 v122, v122, v177, s3
	v_cndmask_b32_e64 v123, v123, v176, s3
	v_cmp_eq_u64_e32 vcc_lo, 6, v[118:119]
	v_cndmask_b32_e64 v170, v172, v98, s1
	v_cndmask_b32_e64 v171, v173, v99, s1
	;; [unrolled: 1-line block ×4, first 2 shown]
	v_cmp_eq_u64_e64 s0, 7, v[118:119]
	v_cndmask_b32_e64 v162, v162, v98, s2
	v_cndmask_b32_e64 v163, v163, v99, s2
	v_cndmask_b32_e32 v98, v122, v171, vcc_lo
	v_cndmask_b32_e32 v122, v123, v170, vcc_lo
	v_ashrrev_i32_e32 v172, 31, v193
	v_fma_f64 v[120:121], v[208:209], v[126:127], v[120:121]
	v_cndmask_b32_e64 v99, v98, v163, s0
	v_cndmask_b32_e64 v98, v122, v162, s0
	s_waitcnt vmcnt(0)
	v_mul_f64 v[122:123], v[146:147], v[202:203]
	v_lshrrev_b32_e32 v126, 29, v172
	v_add_f64 v[98:99], v[98:99], -v[100:101]
	v_add_co_u32 v100, s1, v192, v126
	v_add_co_ci_u32_e64 v101, null, 0, v193, s1
	v_and_b32_e32 v100, -8, v100
	v_sub_co_u32 v100, s1, v192, v100
	v_sub_co_ci_u32_e64 v101, null, v193, v101, s1
	v_cmp_eq_u64_e64 s1, 0, v[118:119]
	v_mul_f64 v[118:119], v[146:147], v[204:205]
	v_fma_f64 v[120:121], v[210:211], v[122:123], v[120:121]
	v_cmp_eq_u64_e64 s2, 1, v[100:101]
	v_cmp_eq_u64_e64 s8, 2, v[100:101]
	v_cndmask_b32_e64 v166, v166, v98, s1
	v_cndmask_b32_e64 v129, v129, v99, s4
	;; [unrolled: 1-line block ×6, first 2 shown]
	v_cmp_eq_u64_e64 s1, 3, v[100:101]
	v_cndmask_b32_e64 v126, v167, v129, s2
	v_cndmask_b32_e64 v127, v166, v128, s2
	;; [unrolled: 1-line block ×4, first 2 shown]
	v_cmp_eq_u64_e64 s4, 4, v[100:101]
	v_cndmask_b32_e64 v126, v126, v123, s8
	v_cndmask_b32_e64 v127, v127, v122, s8
	;; [unrolled: 1-line block ×4, first 2 shown]
	v_cmp_eq_u64_e64 s5, 5, v[100:101]
	v_cndmask_b32_e64 v126, v126, v169, s1
	v_cndmask_b32_e64 v127, v127, v168, s1
	v_fma_f64 v[118:119], v[212:213], v[118:119], v[120:121]
	v_cndmask_b32_e64 v120, v124, v98, s7
	v_cndmask_b32_e64 v121, v125, v99, s7
	;; [unrolled: 1-line block ×4, first 2 shown]
	v_cmp_eq_u64_e64 s3, 6, v[100:101]
	v_cndmask_b32_e32 v170, v170, v98, vcc_lo
	v_cndmask_b32_e32 v171, v171, v99, vcc_lo
	v_cndmask_b32_e64 v124, v124, v121, s5
	v_cndmask_b32_e64 v125, v125, v120, s5
	v_cmp_eq_u64_e32 vcc_lo, 7, v[100:101]
	v_cndmask_b32_e64 v162, v162, v98, s0
	v_cndmask_b32_e64 v163, v163, v99, s0
	;; [unrolled: 1-line block ×4, first 2 shown]
	v_cmp_eq_u64_e64 s0, 0, v[100:101]
	v_cndmask_b32_e32 v99, v98, v163, vcc_lo
	v_cndmask_b32_e32 v98, v124, v162, vcc_lo
	v_add_f64 v[126:127], v[98:99], -v[118:119]
	v_cndmask_b32_e32 v101, v163, v127, vcc_lo
	v_cndmask_b32_e32 v100, v162, v126, vcc_lo
	v_cndmask_b32_e64 v99, v171, v127, s3
	v_cndmask_b32_e64 v98, v170, v126, s3
	;; [unrolled: 1-line block ×14, first 2 shown]
.LBB1_12:                               ;   in Loop: Header=BB1_10 Depth=2
	s_or_b32 exec_lo, exec_lo, s49
	global_load_dwordx2 v[162:163], v[158:159], off offset:8
	s_waitcnt vmcnt(0)
	v_lshlrev_b64 v[162:163], 3, v[162:163]
	v_add_co_u32 v162, vcc_lo, s12, v162
	v_add_co_ci_u32_e64 v163, null, s13, v163, vcc_lo
	global_load_dwordx2 v[166:167], v[160:161], off offset:8
	global_load_dwordx2 v[162:163], v[162:163], off
	s_waitcnt vmcnt(1)
	v_cmp_ne_u64_e32 vcc_lo, 0, v[166:167]
	s_waitcnt vmcnt(0)
	v_cmp_lt_i64_e64 s0, -1, v[162:163]
	s_and_b32 s0, s0, vcc_lo
	s_and_saveexec_b32 s8, s0
	s_cbranch_execz .LBB1_14
; %bb.13:                               ;   in Loop: Header=BB1_10 Depth=2
	v_lshlrev_b64 v[178:179], 5, v[162:163]
	v_lshlrev_b64 v[162:163], 8, v[162:163]
	v_add_co_u32 v166, vcc_lo, s16, v178
	v_add_co_ci_u32_e64 v167, null, s17, v179, vcc_lo
	global_load_dwordx2 v[166:167], v[166:167], off
	s_waitcnt vmcnt(0)
	v_ashrrev_i32_e32 v168, 31, v167
	v_lshrrev_b32_e32 v168, 29, v168
	v_add_co_u32 v166, vcc_lo, v166, v168
	v_add_co_ci_u32_e64 v167, null, 0, v167, vcc_lo
	v_mov_b32_e32 v168, s17
	v_ashrrev_i64 v[166:167], 3, v[166:167]
	v_cmp_eq_u64_e32 vcc_lo, v[154:155], v[166:167]
	v_mov_b32_e32 v166, s20
	v_mov_b32_e32 v167, s21
	v_cndmask_b32_e32 v166, s16, v166, vcc_lo
	v_cndmask_b32_e32 v167, s17, v167, vcc_lo
	;; [unrolled: 1-line block ×3, first 2 shown]
	v_cndmask_b32_e64 v174, 0, 0x80, vcc_lo
	v_add_co_u32 v170, s0, v166, v178
	v_add_co_ci_u32_e64 v171, null, v167, v179, s0
	v_add_co_u32 v174, s0, s22, v174
	v_add_co_ci_u32_e64 v175, null, s23, 0, s0
	s_clause 0x1
	global_load_dwordx4 v[166:169], v[170:171], off
	global_load_dwordx4 v[170:173], v[170:171], off offset:16
	v_add_co_u32 v162, s0, v174, v162
	v_add_co_ci_u32_e64 v163, null, v175, v163, s0
	v_add_co_u32 v162, s0, v162, s24
	v_add_co_ci_u32_e64 v163, null, s25, v163, s0
	global_load_dwordx4 v[174:177], v[162:163], off
	s_waitcnt vmcnt(2)
	v_lshlrev_b64 v[166:167], 3, v[166:167]
	s_waitcnt vmcnt(1)
	v_lshlrev_b64 v[170:171], 3, v[170:171]
	v_lshlrev_b64 v[190:191], 3, v[172:173]
	v_add_co_u32 v166, s0, s47, v166
	v_add_co_ci_u32_e64 v167, null, s48, v167, s0
	global_load_dwordx2 v[206:207], v[166:167], off
	v_mov_b32_e32 v166, s16
	v_cndmask_b32_e32 v181, s20, v166, vcc_lo
	v_lshlrev_b64 v[166:167], 3, v[168:169]
	v_add_co_u32 v198, vcc_lo, v181, v178
	v_add_co_ci_u32_e64 v199, null, v180, v179, vcc_lo
	v_add_co_u32 v186, vcc_lo, s47, v166
	v_add_co_ci_u32_e64 v187, null, s48, v167, vcc_lo
	global_load_dwordx4 v[166:169], v[198:199], off
	s_clause 0x1
	global_load_dwordx4 v[178:181], v[162:163], off offset:16
	global_load_dwordx4 v[182:185], v[162:163], off offset:32
	global_load_dwordx2 v[208:209], v[186:187], off
	v_add_co_u32 v170, vcc_lo, s47, v170
	v_add_co_ci_u32_e64 v171, null, s48, v171, vcc_lo
	v_add_co_u32 v190, vcc_lo, s47, v190
	v_add_co_ci_u32_e64 v191, null, s48, v191, vcc_lo
	global_load_dwordx2 v[210:211], v[170:171], off
	s_clause 0x1
	global_load_dwordx4 v[170:173], v[162:163], off offset:48
	global_load_dwordx4 v[186:189], v[162:163], off offset:64
	global_load_dwordx2 v[212:213], v[190:191], off
	s_clause 0x1
	global_load_dwordx4 v[190:193], v[162:163], off offset:80
	global_load_dwordx4 v[194:197], v[162:163], off offset:96
	;; [unrolled: 1-line block ×4, first 2 shown]
	s_waitcnt vmcnt(13)
	v_mul_f64 v[162:163], v[146:147], v[174:175]
	v_mul_f64 v[174:175], v[146:147], v[176:177]
	s_waitcnt vmcnt(12)
	v_fma_f64 v[162:163], v[162:163], v[206:207], 0
	s_waitcnt vmcnt(11)
	v_ashrrev_i32_e32 v214, 31, v167
	s_waitcnt vmcnt(10)
	v_mul_f64 v[176:177], v[146:147], v[178:179]
	s_waitcnt vmcnt(9)
	v_mul_f64 v[178:179], v[146:147], v[182:183]
	s_waitcnt vmcnt(8)
	v_fma_f64 v[162:163], v[174:175], v[208:209], v[162:163]
	v_lshrrev_b32_e32 v174, 29, v214
	s_waitcnt vmcnt(6)
	v_mul_f64 v[170:171], v[146:147], v[170:171]
	v_add_co_u32 v174, vcc_lo, v166, v174
	v_add_co_ci_u32_e64 v182, null, 0, v167, vcc_lo
	v_mul_f64 v[172:173], v[146:147], v[172:173]
	v_and_b32_e32 v183, -8, v174
	v_mul_f64 v[174:175], v[146:147], v[180:181]
	v_mul_f64 v[180:181], v[146:147], v[184:185]
	v_sub_co_u32 v166, vcc_lo, v166, v183
	v_sub_co_ci_u32_e64 v167, null, v167, v182, vcc_lo
	v_fma_f64 v[178:179], v[206:207], v[178:179], 0
	v_fma_f64 v[162:163], v[176:177], v[210:211], v[162:163]
	v_cmp_eq_u64_e32 vcc_lo, 1, v[166:167]
	v_cmp_eq_u64_e64 s0, 2, v[166:167]
	v_cmp_eq_u64_e64 s1, 3, v[166:167]
	;; [unrolled: 1-line block ×5, first 2 shown]
	v_cndmask_b32_e32 v176, v127, v129, vcc_lo
	v_cndmask_b32_e32 v177, v126, v128, vcc_lo
	v_cmp_eq_u64_e64 s5, 7, v[166:167]
	v_cndmask_b32_e64 v176, v176, v123, s0
	v_cndmask_b32_e64 v182, v177, v122, s0
	;; [unrolled: 1-line block ×4, first 2 shown]
	s_waitcnt vmcnt(5)
	v_mul_f64 v[176:177], v[146:147], v[186:187]
	v_fma_f64 v[178:179], v[208:209], v[180:181], v[178:179]
	s_waitcnt vmcnt(4)
	v_fma_f64 v[162:163], v[174:175], v[212:213], v[162:163]
	v_cndmask_b32_e64 v183, v183, v119, s2
	v_cndmask_b32_e64 v174, v182, v118, s2
	v_ashrrev_i32_e32 v182, 31, v169
	v_mul_f64 v[180:181], v[146:147], v[188:189]
	v_cndmask_b32_e64 v175, v183, v121, s3
	v_cndmask_b32_e64 v174, v174, v120, s3
	;; [unrolled: 1-line block ×6, first 2 shown]
	v_fma_f64 v[176:177], v[206:207], v[176:177], 0
	v_fma_f64 v[170:171], v[210:211], v[170:171], v[178:179]
	v_add_f64 v[162:163], v[174:175], -v[162:163]
	v_lshrrev_b32_e32 v174, 29, v182
	s_waitcnt vmcnt(2)
	v_mul_f64 v[178:179], v[146:147], v[194:195]
	v_add_co_u32 v174, s6, v168, v174
	v_add_co_ci_u32_e64 v182, null, 0, v169, s6
	v_cmp_eq_u64_e64 s6, 0, v[166:167]
	v_and_b32_e32 v183, -8, v174
	v_mul_f64 v[174:175], v[146:147], v[190:191]
	v_sub_co_u32 v166, s7, v168, v183
	v_sub_co_ci_u32_e64 v167, null, v169, v182, s7
	v_fma_f64 v[168:169], v[208:209], v[180:181], v[176:177]
	v_fma_f64 v[170:171], v[212:213], v[172:173], v[170:171]
	v_cndmask_b32_e64 v172, v126, v162, s6
	v_cndmask_b32_e64 v173, v127, v163, s6
	v_cmp_eq_u64_e64 s6, 1, v[166:167]
	v_cndmask_b32_e32 v129, v129, v163, vcc_lo
	v_cndmask_b32_e32 v128, v128, v162, vcc_lo
	v_cmp_eq_u64_e32 vcc_lo, 2, v[166:167]
	v_cndmask_b32_e64 v176, v122, v162, s0
	v_cndmask_b32_e64 v177, v123, v163, s0
	;; [unrolled: 1-line block ×4, first 2 shown]
	v_cmp_eq_u64_e64 s0, 3, v[166:167]
	v_cndmask_b32_e64 v180, v124, v162, s1
	v_cndmask_b32_e64 v181, v125, v163, s1
	v_cndmask_b32_e32 v122, v122, v177, vcc_lo
	v_cndmask_b32_e32 v123, v123, v176, vcc_lo
	v_cmp_eq_u64_e64 s1, 4, v[166:167]
	v_cndmask_b32_e64 v182, v118, v162, s2
	v_cndmask_b32_e64 v183, v119, v163, s2
	v_cndmask_b32_e64 v118, v122, v181, s0
	v_cndmask_b32_e64 v119, v123, v180, s0
	v_cmp_eq_u64_e64 s2, 5, v[166:167]
	v_cndmask_b32_e64 v184, v120, v162, s3
	v_cndmask_b32_e64 v185, v121, v163, s3
	v_cndmask_b32_e64 v118, v118, v183, s1
	v_cndmask_b32_e64 v119, v119, v182, s1
	;; [unrolled: 5-line block ×4, first 2 shown]
	s_waitcnt vmcnt(1)
	v_ashrrev_i32_e32 v124, 31, v199
	v_fma_f64 v[122:123], v[210:211], v[174:175], v[168:169]
	v_mul_f64 v[118:119], v[146:147], v[196:197]
	v_cndmask_b32_e64 v99, v98, v163, s4
	v_cndmask_b32_e64 v98, v100, v162, s4
	v_mul_f64 v[100:101], v[146:147], v[192:193]
	v_lshrrev_b32_e32 v124, 29, v124
	v_fma_f64 v[120:121], v[206:207], v[178:179], 0
	v_add_f64 v[98:99], v[98:99], -v[170:171]
	v_add_co_u32 v124, s5, v198, v124
	v_add_co_ci_u32_e64 v127, null, 0, v199, s5
	v_cmp_eq_u64_e64 s5, 0, v[166:167]
	v_and_b32_e32 v126, -8, v124
	s_waitcnt vmcnt(0)
	v_mul_f64 v[124:125], v[146:147], v[202:203]
	v_sub_co_u32 v126, s7, v198, v126
	v_sub_co_ci_u32_e64 v127, null, v199, v127, s7
	v_fma_f64 v[100:101], v[212:213], v[100:101], v[122:123]
	v_fma_f64 v[118:119], v[208:209], v[118:119], v[120:121]
	v_cndmask_b32_e64 v122, v172, v98, s5
	v_cndmask_b32_e64 v123, v129, v99, s6
	;; [unrolled: 1-line block ×3, first 2 shown]
	v_cmp_eq_u64_e64 s5, 1, v[126:127]
	v_cndmask_b32_e64 v128, v128, v98, s6
	v_cndmask_b32_e32 v166, v176, v98, vcc_lo
	v_cndmask_b32_e32 v167, v177, v99, vcc_lo
	v_cmp_eq_u64_e32 vcc_lo, 2, v[126:127]
	v_cndmask_b32_e64 v168, v180, v98, s0
	v_cndmask_b32_e64 v120, v129, v123, s5
	;; [unrolled: 1-line block ×4, first 2 shown]
	v_cmp_eq_u64_e64 s0, 3, v[126:127]
	v_cndmask_b32_e64 v170, v182, v98, s1
	v_cndmask_b32_e32 v120, v120, v167, vcc_lo
	v_cndmask_b32_e32 v121, v121, v166, vcc_lo
	v_cndmask_b32_e64 v171, v183, v99, s1
	v_cmp_eq_u64_e64 s1, 4, v[126:127]
	v_cndmask_b32_e64 v172, v184, v98, s2
	v_cndmask_b32_e64 v120, v120, v169, s0
	v_cndmask_b32_e64 v121, v121, v168, s0
	v_cndmask_b32_e64 v173, v185, v99, s2
	v_cmp_eq_u64_e64 s2, 5, v[126:127]
	v_cndmask_b32_e64 v174, v186, v98, s3
	v_cndmask_b32_e64 v120, v120, v171, s1
	v_cndmask_b32_e64 v121, v121, v170, s1
	;; [unrolled: 5-line block ×3, first 2 shown]
	v_cndmask_b32_e64 v163, v163, v99, s4
	v_cmp_eq_u64_e64 s4, 7, v[126:127]
	v_ashrrev_i32_e32 v176, 31, v201
	v_cndmask_b32_e64 v98, v120, v175, s3
	v_cndmask_b32_e64 v120, v121, v174, s3
	v_fma_f64 v[118:119], v[210:211], v[124:125], v[118:119]
	v_cndmask_b32_e64 v99, v98, v163, s4
	v_cndmask_b32_e64 v98, v120, v162, s4
	v_mul_f64 v[120:121], v[146:147], v[204:205]
	v_add_f64 v[98:99], v[98:99], -v[100:101]
	v_lshrrev_b32_e32 v100, 29, v176
	v_add_co_u32 v100, s6, v200, v100
	v_add_co_ci_u32_e64 v101, null, 0, v201, s6
	v_cmp_eq_u64_e64 s6, 0, v[126:127]
	v_and_b32_e32 v100, -8, v100
	v_sub_co_u32 v100, s7, v200, v100
	v_sub_co_ci_u32_e64 v101, null, v201, v101, s7
	v_fma_f64 v[118:119], v[212:213], v[120:121], v[118:119]
	v_cndmask_b32_e64 v176, v122, v98, s6
	v_cndmask_b32_e64 v178, v129, v99, s6
	v_cmp_eq_u64_e64 s6, 1, v[100:101]
	v_cndmask_b32_e64 v177, v123, v99, s5
	v_cndmask_b32_e64 v128, v128, v98, s5
	v_cndmask_b32_e32 v122, v166, v98, vcc_lo
	v_cndmask_b32_e32 v123, v167, v99, vcc_lo
	v_cmp_eq_u64_e32 vcc_lo, 2, v[100:101]
	v_cndmask_b32_e64 v120, v178, v177, s6
	v_cndmask_b32_e64 v121, v176, v128, s6
	;; [unrolled: 1-line block ×4, first 2 shown]
	v_cmp_eq_u64_e64 s0, 3, v[100:101]
	v_cndmask_b32_e32 v120, v120, v123, vcc_lo
	v_cndmask_b32_e32 v121, v121, v122, vcc_lo
	v_cndmask_b32_e64 v129, v170, v98, s1
	v_cndmask_b32_e64 v166, v171, v99, s1
	v_cmp_eq_u64_e64 s1, 4, v[100:101]
	v_cndmask_b32_e64 v120, v120, v125, s0
	v_cndmask_b32_e64 v121, v121, v124, s0
	v_cndmask_b32_e64 v167, v172, v98, s2
	v_cndmask_b32_e64 v168, v173, v99, s2
	v_cmp_eq_u64_e64 s2, 5, v[100:101]
	v_cndmask_b32_e64 v120, v120, v166, s1
	v_cndmask_b32_e64 v121, v121, v129, s1
	;; [unrolled: 5-line block ×4, first 2 shown]
	v_cmp_eq_u64_e64 s5, 0, v[100:101]
	v_cndmask_b32_e64 v99, v98, v163, s4
	v_cndmask_b32_e64 v98, v120, v162, s4
	v_add_f64 v[126:127], v[98:99], -v[118:119]
	v_cndmask_b32_e64 v101, v163, v127, s4
	v_cndmask_b32_e64 v100, v162, v126, s4
	;; [unrolled: 1-line block ×10, first 2 shown]
	v_cndmask_b32_e32 v123, v123, v127, vcc_lo
	v_cndmask_b32_e32 v122, v122, v126, vcc_lo
	v_cndmask_b32_e64 v129, v177, v127, s6
	v_cndmask_b32_e64 v128, v128, v126, s6
	;; [unrolled: 1-line block ×4, first 2 shown]
.LBB1_14:                               ;   in Loop: Header=BB1_10 Depth=2
	s_or_b32 exec_lo, exec_lo, s8
	global_load_dwordx2 v[162:163], v[158:159], off offset:16
	s_waitcnt vmcnt(0)
	v_lshlrev_b64 v[162:163], 3, v[162:163]
	v_add_co_u32 v162, vcc_lo, s12, v162
	v_add_co_ci_u32_e64 v163, null, s13, v163, vcc_lo
	global_load_dwordx2 v[166:167], v[160:161], off offset:16
	global_load_dwordx2 v[162:163], v[162:163], off
	s_waitcnt vmcnt(1)
	v_cmp_ne_u64_e32 vcc_lo, 0, v[166:167]
	s_waitcnt vmcnt(0)
	v_cmp_lt_i64_e64 s0, -1, v[162:163]
	s_and_b32 s0, s0, vcc_lo
	s_and_saveexec_b32 s8, s0
	s_cbranch_execz .LBB1_16
; %bb.15:                               ;   in Loop: Header=BB1_10 Depth=2
	v_lshlrev_b64 v[178:179], 5, v[162:163]
	v_lshlrev_b64 v[162:163], 8, v[162:163]
	v_add_co_u32 v166, vcc_lo, s16, v178
	v_add_co_ci_u32_e64 v167, null, s17, v179, vcc_lo
	global_load_dwordx2 v[166:167], v[166:167], off
	s_waitcnt vmcnt(0)
	v_ashrrev_i32_e32 v168, 31, v167
	v_lshrrev_b32_e32 v168, 29, v168
	v_add_co_u32 v166, vcc_lo, v166, v168
	v_add_co_ci_u32_e64 v167, null, 0, v167, vcc_lo
	v_mov_b32_e32 v168, s17
	v_ashrrev_i64 v[166:167], 3, v[166:167]
	v_cmp_eq_u64_e32 vcc_lo, v[154:155], v[166:167]
	v_mov_b32_e32 v166, s20
	v_mov_b32_e32 v167, s21
	v_cndmask_b32_e32 v166, s16, v166, vcc_lo
	v_cndmask_b32_e32 v167, s17, v167, vcc_lo
	;; [unrolled: 1-line block ×3, first 2 shown]
	v_cndmask_b32_e64 v174, 0, 0x80, vcc_lo
	v_add_co_u32 v170, s0, v166, v178
	v_add_co_ci_u32_e64 v171, null, v167, v179, s0
	v_add_co_u32 v174, s0, s22, v174
	v_add_co_ci_u32_e64 v175, null, s23, 0, s0
	s_clause 0x1
	global_load_dwordx4 v[166:169], v[170:171], off
	global_load_dwordx4 v[170:173], v[170:171], off offset:16
	v_add_co_u32 v162, s0, v174, v162
	v_add_co_ci_u32_e64 v163, null, v175, v163, s0
	v_add_co_u32 v162, s0, v162, s24
	v_add_co_ci_u32_e64 v163, null, s25, v163, s0
	global_load_dwordx4 v[174:177], v[162:163], off
	s_waitcnt vmcnt(2)
	v_lshlrev_b64 v[166:167], 3, v[166:167]
	s_waitcnt vmcnt(1)
	v_lshlrev_b64 v[170:171], 3, v[170:171]
	v_lshlrev_b64 v[190:191], 3, v[172:173]
	v_add_co_u32 v166, s0, s47, v166
	v_add_co_ci_u32_e64 v167, null, s48, v167, s0
	global_load_dwordx2 v[206:207], v[166:167], off
	v_mov_b32_e32 v166, s16
	v_cndmask_b32_e32 v181, s20, v166, vcc_lo
	v_lshlrev_b64 v[166:167], 3, v[168:169]
	v_add_co_u32 v198, vcc_lo, v181, v178
	v_add_co_ci_u32_e64 v199, null, v180, v179, vcc_lo
	v_add_co_u32 v186, vcc_lo, s47, v166
	v_add_co_ci_u32_e64 v187, null, s48, v167, vcc_lo
	global_load_dwordx4 v[166:169], v[198:199], off
	s_clause 0x1
	global_load_dwordx4 v[178:181], v[162:163], off offset:16
	global_load_dwordx4 v[182:185], v[162:163], off offset:32
	global_load_dwordx2 v[208:209], v[186:187], off
	v_add_co_u32 v170, vcc_lo, s47, v170
	v_add_co_ci_u32_e64 v171, null, s48, v171, vcc_lo
	v_add_co_u32 v190, vcc_lo, s47, v190
	v_add_co_ci_u32_e64 v191, null, s48, v191, vcc_lo
	global_load_dwordx2 v[210:211], v[170:171], off
	s_clause 0x1
	global_load_dwordx4 v[170:173], v[162:163], off offset:48
	global_load_dwordx4 v[186:189], v[162:163], off offset:64
	global_load_dwordx2 v[212:213], v[190:191], off
	s_clause 0x1
	global_load_dwordx4 v[190:193], v[162:163], off offset:80
	global_load_dwordx4 v[194:197], v[162:163], off offset:96
	global_load_dwordx4 v[198:201], v[198:199], off offset:16
	global_load_dwordx4 v[202:205], v[162:163], off offset:112
	s_waitcnt vmcnt(13)
	v_mul_f64 v[162:163], v[146:147], v[174:175]
	v_mul_f64 v[174:175], v[146:147], v[176:177]
	s_waitcnt vmcnt(12)
	v_fma_f64 v[162:163], v[162:163], v[206:207], 0
	s_waitcnt vmcnt(11)
	v_ashrrev_i32_e32 v214, 31, v167
	s_waitcnt vmcnt(10)
	v_mul_f64 v[176:177], v[146:147], v[178:179]
	s_waitcnt vmcnt(9)
	v_mul_f64 v[178:179], v[146:147], v[182:183]
	s_waitcnt vmcnt(8)
	v_fma_f64 v[162:163], v[174:175], v[208:209], v[162:163]
	v_lshrrev_b32_e32 v174, 29, v214
	s_waitcnt vmcnt(6)
	v_mul_f64 v[170:171], v[146:147], v[170:171]
	v_add_co_u32 v174, vcc_lo, v166, v174
	v_add_co_ci_u32_e64 v182, null, 0, v167, vcc_lo
	v_mul_f64 v[172:173], v[146:147], v[172:173]
	v_and_b32_e32 v183, -8, v174
	v_mul_f64 v[174:175], v[146:147], v[180:181]
	v_mul_f64 v[180:181], v[146:147], v[184:185]
	v_sub_co_u32 v166, vcc_lo, v166, v183
	v_sub_co_ci_u32_e64 v167, null, v167, v182, vcc_lo
	v_fma_f64 v[178:179], v[206:207], v[178:179], 0
	v_fma_f64 v[162:163], v[176:177], v[210:211], v[162:163]
	v_cmp_eq_u64_e32 vcc_lo, 1, v[166:167]
	v_cmp_eq_u64_e64 s0, 2, v[166:167]
	v_cmp_eq_u64_e64 s1, 3, v[166:167]
	;; [unrolled: 1-line block ×5, first 2 shown]
	v_cndmask_b32_e32 v176, v127, v129, vcc_lo
	v_cndmask_b32_e32 v177, v126, v128, vcc_lo
	v_cmp_eq_u64_e64 s5, 7, v[166:167]
	v_cndmask_b32_e64 v176, v176, v123, s0
	v_cndmask_b32_e64 v182, v177, v122, s0
	v_cndmask_b32_e64 v183, v176, v125, s1
	v_cndmask_b32_e64 v182, v182, v124, s1
	s_waitcnt vmcnt(5)
	v_mul_f64 v[176:177], v[146:147], v[186:187]
	v_fma_f64 v[178:179], v[208:209], v[180:181], v[178:179]
	s_waitcnt vmcnt(4)
	v_fma_f64 v[162:163], v[174:175], v[212:213], v[162:163]
	v_cndmask_b32_e64 v183, v183, v119, s2
	v_cndmask_b32_e64 v174, v182, v118, s2
	v_ashrrev_i32_e32 v182, 31, v169
	v_mul_f64 v[180:181], v[146:147], v[188:189]
	v_cndmask_b32_e64 v175, v183, v121, s3
	v_cndmask_b32_e64 v174, v174, v120, s3
	;; [unrolled: 1-line block ×6, first 2 shown]
	v_fma_f64 v[176:177], v[206:207], v[176:177], 0
	v_fma_f64 v[170:171], v[210:211], v[170:171], v[178:179]
	v_add_f64 v[162:163], v[174:175], -v[162:163]
	v_lshrrev_b32_e32 v174, 29, v182
	s_waitcnt vmcnt(2)
	v_mul_f64 v[178:179], v[146:147], v[194:195]
	v_add_co_u32 v174, s6, v168, v174
	v_add_co_ci_u32_e64 v182, null, 0, v169, s6
	v_cmp_eq_u64_e64 s6, 0, v[166:167]
	v_and_b32_e32 v183, -8, v174
	v_mul_f64 v[174:175], v[146:147], v[190:191]
	v_sub_co_u32 v166, s7, v168, v183
	v_sub_co_ci_u32_e64 v167, null, v169, v182, s7
	v_fma_f64 v[168:169], v[208:209], v[180:181], v[176:177]
	v_fma_f64 v[170:171], v[212:213], v[172:173], v[170:171]
	v_cndmask_b32_e64 v172, v126, v162, s6
	v_cndmask_b32_e64 v173, v127, v163, s6
	v_cmp_eq_u64_e64 s6, 1, v[166:167]
	v_cndmask_b32_e32 v129, v129, v163, vcc_lo
	v_cndmask_b32_e32 v128, v128, v162, vcc_lo
	v_cmp_eq_u64_e32 vcc_lo, 2, v[166:167]
	v_cndmask_b32_e64 v176, v122, v162, s0
	v_cndmask_b32_e64 v177, v123, v163, s0
	;; [unrolled: 1-line block ×4, first 2 shown]
	v_cmp_eq_u64_e64 s0, 3, v[166:167]
	v_cndmask_b32_e64 v180, v124, v162, s1
	v_cndmask_b32_e64 v181, v125, v163, s1
	v_cndmask_b32_e32 v122, v122, v177, vcc_lo
	v_cndmask_b32_e32 v123, v123, v176, vcc_lo
	v_cmp_eq_u64_e64 s1, 4, v[166:167]
	v_cndmask_b32_e64 v182, v118, v162, s2
	v_cndmask_b32_e64 v183, v119, v163, s2
	v_cndmask_b32_e64 v118, v122, v181, s0
	v_cndmask_b32_e64 v119, v123, v180, s0
	v_cmp_eq_u64_e64 s2, 5, v[166:167]
	v_cndmask_b32_e64 v184, v120, v162, s3
	v_cndmask_b32_e64 v185, v121, v163, s3
	v_cndmask_b32_e64 v118, v118, v183, s1
	v_cndmask_b32_e64 v119, v119, v182, s1
	;; [unrolled: 5-line block ×4, first 2 shown]
	s_waitcnt vmcnt(1)
	v_ashrrev_i32_e32 v124, 31, v199
	v_fma_f64 v[122:123], v[210:211], v[174:175], v[168:169]
	v_mul_f64 v[118:119], v[146:147], v[196:197]
	v_cndmask_b32_e64 v99, v98, v163, s4
	v_cndmask_b32_e64 v98, v100, v162, s4
	v_mul_f64 v[100:101], v[146:147], v[192:193]
	v_lshrrev_b32_e32 v124, 29, v124
	v_fma_f64 v[120:121], v[206:207], v[178:179], 0
	v_add_f64 v[98:99], v[98:99], -v[170:171]
	v_add_co_u32 v124, s5, v198, v124
	v_add_co_ci_u32_e64 v127, null, 0, v199, s5
	v_cmp_eq_u64_e64 s5, 0, v[166:167]
	v_and_b32_e32 v126, -8, v124
	s_waitcnt vmcnt(0)
	v_mul_f64 v[124:125], v[146:147], v[202:203]
	v_sub_co_u32 v126, s7, v198, v126
	v_sub_co_ci_u32_e64 v127, null, v199, v127, s7
	v_fma_f64 v[100:101], v[212:213], v[100:101], v[122:123]
	v_fma_f64 v[118:119], v[208:209], v[118:119], v[120:121]
	v_cndmask_b32_e64 v122, v172, v98, s5
	v_cndmask_b32_e64 v123, v129, v99, s6
	;; [unrolled: 1-line block ×3, first 2 shown]
	v_cmp_eq_u64_e64 s5, 1, v[126:127]
	v_cndmask_b32_e64 v128, v128, v98, s6
	v_cndmask_b32_e32 v166, v176, v98, vcc_lo
	v_cndmask_b32_e32 v167, v177, v99, vcc_lo
	v_cmp_eq_u64_e32 vcc_lo, 2, v[126:127]
	v_cndmask_b32_e64 v168, v180, v98, s0
	v_cndmask_b32_e64 v120, v129, v123, s5
	;; [unrolled: 1-line block ×4, first 2 shown]
	v_cmp_eq_u64_e64 s0, 3, v[126:127]
	v_cndmask_b32_e64 v170, v182, v98, s1
	v_cndmask_b32_e32 v120, v120, v167, vcc_lo
	v_cndmask_b32_e32 v121, v121, v166, vcc_lo
	v_cndmask_b32_e64 v171, v183, v99, s1
	v_cmp_eq_u64_e64 s1, 4, v[126:127]
	v_cndmask_b32_e64 v172, v184, v98, s2
	v_cndmask_b32_e64 v120, v120, v169, s0
	v_cndmask_b32_e64 v121, v121, v168, s0
	v_cndmask_b32_e64 v173, v185, v99, s2
	v_cmp_eq_u64_e64 s2, 5, v[126:127]
	v_cndmask_b32_e64 v174, v186, v98, s3
	v_cndmask_b32_e64 v120, v120, v171, s1
	v_cndmask_b32_e64 v121, v121, v170, s1
	;; [unrolled: 5-line block ×3, first 2 shown]
	v_cndmask_b32_e64 v163, v163, v99, s4
	v_cmp_eq_u64_e64 s4, 7, v[126:127]
	v_ashrrev_i32_e32 v176, 31, v201
	v_cndmask_b32_e64 v98, v120, v175, s3
	v_cndmask_b32_e64 v120, v121, v174, s3
	v_fma_f64 v[118:119], v[210:211], v[124:125], v[118:119]
	v_cndmask_b32_e64 v99, v98, v163, s4
	v_cndmask_b32_e64 v98, v120, v162, s4
	v_mul_f64 v[120:121], v[146:147], v[204:205]
	v_add_f64 v[98:99], v[98:99], -v[100:101]
	v_lshrrev_b32_e32 v100, 29, v176
	v_add_co_u32 v100, s6, v200, v100
	v_add_co_ci_u32_e64 v101, null, 0, v201, s6
	v_cmp_eq_u64_e64 s6, 0, v[126:127]
	v_and_b32_e32 v100, -8, v100
	v_sub_co_u32 v100, s7, v200, v100
	v_sub_co_ci_u32_e64 v101, null, v201, v101, s7
	v_fma_f64 v[118:119], v[212:213], v[120:121], v[118:119]
	v_cndmask_b32_e64 v176, v122, v98, s6
	v_cndmask_b32_e64 v178, v129, v99, s6
	v_cmp_eq_u64_e64 s6, 1, v[100:101]
	v_cndmask_b32_e64 v177, v123, v99, s5
	v_cndmask_b32_e64 v128, v128, v98, s5
	v_cndmask_b32_e32 v122, v166, v98, vcc_lo
	v_cndmask_b32_e32 v123, v167, v99, vcc_lo
	v_cmp_eq_u64_e32 vcc_lo, 2, v[100:101]
	v_cndmask_b32_e64 v120, v178, v177, s6
	v_cndmask_b32_e64 v121, v176, v128, s6
	;; [unrolled: 1-line block ×4, first 2 shown]
	v_cmp_eq_u64_e64 s0, 3, v[100:101]
	v_cndmask_b32_e32 v120, v120, v123, vcc_lo
	v_cndmask_b32_e32 v121, v121, v122, vcc_lo
	v_cndmask_b32_e64 v129, v170, v98, s1
	v_cndmask_b32_e64 v166, v171, v99, s1
	v_cmp_eq_u64_e64 s1, 4, v[100:101]
	v_cndmask_b32_e64 v120, v120, v125, s0
	v_cndmask_b32_e64 v121, v121, v124, s0
	v_cndmask_b32_e64 v167, v172, v98, s2
	v_cndmask_b32_e64 v168, v173, v99, s2
	v_cmp_eq_u64_e64 s2, 5, v[100:101]
	v_cndmask_b32_e64 v120, v120, v166, s1
	v_cndmask_b32_e64 v121, v121, v129, s1
	;; [unrolled: 5-line block ×4, first 2 shown]
	v_cmp_eq_u64_e64 s5, 0, v[100:101]
	v_cndmask_b32_e64 v99, v98, v163, s4
	v_cndmask_b32_e64 v98, v120, v162, s4
	v_add_f64 v[126:127], v[98:99], -v[118:119]
	v_cndmask_b32_e64 v101, v163, v127, s4
	v_cndmask_b32_e64 v100, v162, v126, s4
	;; [unrolled: 1-line block ×10, first 2 shown]
	v_cndmask_b32_e32 v123, v123, v127, vcc_lo
	v_cndmask_b32_e32 v122, v122, v126, vcc_lo
	v_cndmask_b32_e64 v129, v177, v127, s6
	v_cndmask_b32_e64 v128, v128, v126, s6
	;; [unrolled: 1-line block ×4, first 2 shown]
.LBB1_16:                               ;   in Loop: Header=BB1_10 Depth=2
	s_or_b32 exec_lo, exec_lo, s8
	global_load_dwordx2 v[162:163], v[158:159], off offset:24
	s_waitcnt vmcnt(0)
	v_lshlrev_b64 v[162:163], 3, v[162:163]
	v_add_co_u32 v162, vcc_lo, s12, v162
	v_add_co_ci_u32_e64 v163, null, s13, v163, vcc_lo
	global_load_dwordx2 v[166:167], v[160:161], off offset:24
	global_load_dwordx2 v[162:163], v[162:163], off
	s_waitcnt vmcnt(1)
	v_cmp_ne_u64_e32 vcc_lo, 0, v[166:167]
	s_waitcnt vmcnt(0)
	v_cmp_lt_i64_e64 s0, -1, v[162:163]
	s_and_b32 s0, s0, vcc_lo
	s_and_saveexec_b32 s8, s0
	s_cbranch_execz .LBB1_18
; %bb.17:                               ;   in Loop: Header=BB1_10 Depth=2
	v_lshlrev_b64 v[178:179], 5, v[162:163]
	v_lshlrev_b64 v[162:163], 8, v[162:163]
	v_add_co_u32 v166, vcc_lo, s16, v178
	v_add_co_ci_u32_e64 v167, null, s17, v179, vcc_lo
	global_load_dwordx2 v[166:167], v[166:167], off
	s_waitcnt vmcnt(0)
	v_ashrrev_i32_e32 v168, 31, v167
	v_lshrrev_b32_e32 v168, 29, v168
	v_add_co_u32 v166, vcc_lo, v166, v168
	v_add_co_ci_u32_e64 v167, null, 0, v167, vcc_lo
	v_mov_b32_e32 v168, s17
	v_ashrrev_i64 v[166:167], 3, v[166:167]
	v_cmp_eq_u64_e32 vcc_lo, v[154:155], v[166:167]
	v_mov_b32_e32 v166, s20
	v_mov_b32_e32 v167, s21
	v_cndmask_b32_e32 v166, s16, v166, vcc_lo
	v_cndmask_b32_e32 v167, s17, v167, vcc_lo
	;; [unrolled: 1-line block ×3, first 2 shown]
	v_cndmask_b32_e64 v174, 0, 0x80, vcc_lo
	v_add_co_u32 v170, s0, v166, v178
	v_add_co_ci_u32_e64 v171, null, v167, v179, s0
	v_add_co_u32 v174, s0, s22, v174
	v_add_co_ci_u32_e64 v175, null, s23, 0, s0
	s_clause 0x1
	global_load_dwordx4 v[166:169], v[170:171], off
	global_load_dwordx4 v[170:173], v[170:171], off offset:16
	v_add_co_u32 v162, s0, v174, v162
	v_add_co_ci_u32_e64 v163, null, v175, v163, s0
	v_add_co_u32 v162, s0, v162, s24
	v_add_co_ci_u32_e64 v163, null, s25, v163, s0
	global_load_dwordx4 v[174:177], v[162:163], off
	s_waitcnt vmcnt(2)
	v_lshlrev_b64 v[166:167], 3, v[166:167]
	s_waitcnt vmcnt(1)
	v_lshlrev_b64 v[170:171], 3, v[170:171]
	v_lshlrev_b64 v[190:191], 3, v[172:173]
	v_add_co_u32 v166, s0, s47, v166
	v_add_co_ci_u32_e64 v167, null, s48, v167, s0
	global_load_dwordx2 v[206:207], v[166:167], off
	v_mov_b32_e32 v166, s16
	v_cndmask_b32_e32 v181, s20, v166, vcc_lo
	v_lshlrev_b64 v[166:167], 3, v[168:169]
	v_add_co_u32 v198, vcc_lo, v181, v178
	v_add_co_ci_u32_e64 v199, null, v180, v179, vcc_lo
	v_add_co_u32 v186, vcc_lo, s47, v166
	v_add_co_ci_u32_e64 v187, null, s48, v167, vcc_lo
	global_load_dwordx4 v[166:169], v[198:199], off
	s_clause 0x1
	global_load_dwordx4 v[178:181], v[162:163], off offset:16
	global_load_dwordx4 v[182:185], v[162:163], off offset:32
	global_load_dwordx2 v[208:209], v[186:187], off
	v_add_co_u32 v170, vcc_lo, s47, v170
	v_add_co_ci_u32_e64 v171, null, s48, v171, vcc_lo
	v_add_co_u32 v190, vcc_lo, s47, v190
	v_add_co_ci_u32_e64 v191, null, s48, v191, vcc_lo
	global_load_dwordx2 v[210:211], v[170:171], off
	s_clause 0x1
	global_load_dwordx4 v[170:173], v[162:163], off offset:48
	global_load_dwordx4 v[186:189], v[162:163], off offset:64
	global_load_dwordx2 v[212:213], v[190:191], off
	s_clause 0x1
	global_load_dwordx4 v[190:193], v[162:163], off offset:80
	global_load_dwordx4 v[194:197], v[162:163], off offset:96
	;; [unrolled: 1-line block ×4, first 2 shown]
	s_waitcnt vmcnt(13)
	v_mul_f64 v[162:163], v[146:147], v[174:175]
	v_mul_f64 v[174:175], v[146:147], v[176:177]
	s_waitcnt vmcnt(12)
	v_fma_f64 v[162:163], v[162:163], v[206:207], 0
	s_waitcnt vmcnt(11)
	v_ashrrev_i32_e32 v214, 31, v167
	s_waitcnt vmcnt(10)
	v_mul_f64 v[176:177], v[146:147], v[178:179]
	s_waitcnt vmcnt(9)
	v_mul_f64 v[178:179], v[146:147], v[182:183]
	s_waitcnt vmcnt(8)
	v_fma_f64 v[162:163], v[174:175], v[208:209], v[162:163]
	v_lshrrev_b32_e32 v174, 29, v214
	s_waitcnt vmcnt(6)
	v_mul_f64 v[170:171], v[146:147], v[170:171]
	v_add_co_u32 v174, vcc_lo, v166, v174
	v_add_co_ci_u32_e64 v182, null, 0, v167, vcc_lo
	v_mul_f64 v[172:173], v[146:147], v[172:173]
	v_and_b32_e32 v183, -8, v174
	v_mul_f64 v[174:175], v[146:147], v[180:181]
	v_mul_f64 v[180:181], v[146:147], v[184:185]
	v_sub_co_u32 v166, vcc_lo, v166, v183
	v_sub_co_ci_u32_e64 v167, null, v167, v182, vcc_lo
	v_fma_f64 v[178:179], v[206:207], v[178:179], 0
	v_fma_f64 v[162:163], v[176:177], v[210:211], v[162:163]
	v_cmp_eq_u64_e32 vcc_lo, 1, v[166:167]
	v_cmp_eq_u64_e64 s0, 2, v[166:167]
	v_cmp_eq_u64_e64 s1, 3, v[166:167]
	;; [unrolled: 1-line block ×5, first 2 shown]
	v_cndmask_b32_e32 v176, v127, v129, vcc_lo
	v_cndmask_b32_e32 v177, v126, v128, vcc_lo
	v_cmp_eq_u64_e64 s5, 7, v[166:167]
	v_cndmask_b32_e64 v176, v176, v123, s0
	v_cndmask_b32_e64 v182, v177, v122, s0
	;; [unrolled: 1-line block ×4, first 2 shown]
	s_waitcnt vmcnt(5)
	v_mul_f64 v[176:177], v[146:147], v[186:187]
	v_fma_f64 v[178:179], v[208:209], v[180:181], v[178:179]
	s_waitcnt vmcnt(4)
	v_fma_f64 v[162:163], v[174:175], v[212:213], v[162:163]
	v_cndmask_b32_e64 v183, v183, v119, s2
	v_cndmask_b32_e64 v174, v182, v118, s2
	v_ashrrev_i32_e32 v182, 31, v169
	v_mul_f64 v[180:181], v[146:147], v[188:189]
	v_cndmask_b32_e64 v175, v183, v121, s3
	v_cndmask_b32_e64 v174, v174, v120, s3
	;; [unrolled: 1-line block ×6, first 2 shown]
	v_fma_f64 v[176:177], v[206:207], v[176:177], 0
	v_fma_f64 v[170:171], v[210:211], v[170:171], v[178:179]
	v_add_f64 v[162:163], v[174:175], -v[162:163]
	v_lshrrev_b32_e32 v174, 29, v182
	s_waitcnt vmcnt(2)
	v_mul_f64 v[178:179], v[146:147], v[194:195]
	v_add_co_u32 v174, s6, v168, v174
	v_add_co_ci_u32_e64 v182, null, 0, v169, s6
	v_cmp_eq_u64_e64 s6, 0, v[166:167]
	v_and_b32_e32 v183, -8, v174
	v_mul_f64 v[174:175], v[146:147], v[190:191]
	v_sub_co_u32 v166, s7, v168, v183
	v_sub_co_ci_u32_e64 v167, null, v169, v182, s7
	v_fma_f64 v[168:169], v[208:209], v[180:181], v[176:177]
	v_fma_f64 v[170:171], v[212:213], v[172:173], v[170:171]
	v_cndmask_b32_e64 v172, v126, v162, s6
	v_cndmask_b32_e64 v173, v127, v163, s6
	v_cmp_eq_u64_e64 s6, 1, v[166:167]
	v_cndmask_b32_e32 v129, v129, v163, vcc_lo
	v_cndmask_b32_e32 v128, v128, v162, vcc_lo
	v_cmp_eq_u64_e32 vcc_lo, 2, v[166:167]
	v_cndmask_b32_e64 v176, v122, v162, s0
	v_cndmask_b32_e64 v177, v123, v163, s0
	;; [unrolled: 1-line block ×4, first 2 shown]
	v_cmp_eq_u64_e64 s0, 3, v[166:167]
	v_cndmask_b32_e64 v180, v124, v162, s1
	v_cndmask_b32_e64 v181, v125, v163, s1
	v_cndmask_b32_e32 v122, v122, v177, vcc_lo
	v_cndmask_b32_e32 v123, v123, v176, vcc_lo
	v_cmp_eq_u64_e64 s1, 4, v[166:167]
	v_cndmask_b32_e64 v182, v118, v162, s2
	v_cndmask_b32_e64 v183, v119, v163, s2
	v_cndmask_b32_e64 v118, v122, v181, s0
	v_cndmask_b32_e64 v119, v123, v180, s0
	v_cmp_eq_u64_e64 s2, 5, v[166:167]
	v_cndmask_b32_e64 v184, v120, v162, s3
	v_cndmask_b32_e64 v185, v121, v163, s3
	v_cndmask_b32_e64 v118, v118, v183, s1
	v_cndmask_b32_e64 v119, v119, v182, s1
	;; [unrolled: 5-line block ×4, first 2 shown]
	s_waitcnt vmcnt(1)
	v_ashrrev_i32_e32 v124, 31, v199
	v_fma_f64 v[122:123], v[210:211], v[174:175], v[168:169]
	v_mul_f64 v[118:119], v[146:147], v[196:197]
	v_cndmask_b32_e64 v99, v98, v163, s4
	v_cndmask_b32_e64 v98, v100, v162, s4
	v_mul_f64 v[100:101], v[146:147], v[192:193]
	v_lshrrev_b32_e32 v124, 29, v124
	v_fma_f64 v[120:121], v[206:207], v[178:179], 0
	v_add_f64 v[98:99], v[98:99], -v[170:171]
	v_add_co_u32 v124, s5, v198, v124
	v_add_co_ci_u32_e64 v127, null, 0, v199, s5
	v_cmp_eq_u64_e64 s5, 0, v[166:167]
	v_and_b32_e32 v126, -8, v124
	s_waitcnt vmcnt(0)
	v_mul_f64 v[124:125], v[146:147], v[202:203]
	v_sub_co_u32 v126, s7, v198, v126
	v_sub_co_ci_u32_e64 v127, null, v199, v127, s7
	v_fma_f64 v[100:101], v[212:213], v[100:101], v[122:123]
	v_fma_f64 v[118:119], v[208:209], v[118:119], v[120:121]
	v_cndmask_b32_e64 v122, v172, v98, s5
	v_cndmask_b32_e64 v123, v129, v99, s6
	;; [unrolled: 1-line block ×3, first 2 shown]
	v_cmp_eq_u64_e64 s5, 1, v[126:127]
	v_cndmask_b32_e64 v128, v128, v98, s6
	v_cndmask_b32_e32 v166, v176, v98, vcc_lo
	v_cndmask_b32_e32 v167, v177, v99, vcc_lo
	v_cmp_eq_u64_e32 vcc_lo, 2, v[126:127]
	v_cndmask_b32_e64 v168, v180, v98, s0
	v_cndmask_b32_e64 v120, v129, v123, s5
	;; [unrolled: 1-line block ×4, first 2 shown]
	v_cmp_eq_u64_e64 s0, 3, v[126:127]
	v_cndmask_b32_e64 v170, v182, v98, s1
	v_cndmask_b32_e32 v120, v120, v167, vcc_lo
	v_cndmask_b32_e32 v121, v121, v166, vcc_lo
	v_cndmask_b32_e64 v171, v183, v99, s1
	v_cmp_eq_u64_e64 s1, 4, v[126:127]
	v_cndmask_b32_e64 v172, v184, v98, s2
	v_cndmask_b32_e64 v120, v120, v169, s0
	v_cndmask_b32_e64 v121, v121, v168, s0
	v_cndmask_b32_e64 v173, v185, v99, s2
	v_cmp_eq_u64_e64 s2, 5, v[126:127]
	v_cndmask_b32_e64 v174, v186, v98, s3
	v_cndmask_b32_e64 v120, v120, v171, s1
	v_cndmask_b32_e64 v121, v121, v170, s1
	;; [unrolled: 5-line block ×3, first 2 shown]
	v_cndmask_b32_e64 v163, v163, v99, s4
	v_cmp_eq_u64_e64 s4, 7, v[126:127]
	v_ashrrev_i32_e32 v176, 31, v201
	v_cndmask_b32_e64 v98, v120, v175, s3
	v_cndmask_b32_e64 v120, v121, v174, s3
	v_fma_f64 v[118:119], v[210:211], v[124:125], v[118:119]
	v_cndmask_b32_e64 v99, v98, v163, s4
	v_cndmask_b32_e64 v98, v120, v162, s4
	v_mul_f64 v[120:121], v[146:147], v[204:205]
	v_add_f64 v[98:99], v[98:99], -v[100:101]
	v_lshrrev_b32_e32 v100, 29, v176
	v_add_co_u32 v100, s6, v200, v100
	v_add_co_ci_u32_e64 v101, null, 0, v201, s6
	v_cmp_eq_u64_e64 s6, 0, v[126:127]
	v_and_b32_e32 v100, -8, v100
	v_sub_co_u32 v100, s7, v200, v100
	v_sub_co_ci_u32_e64 v101, null, v201, v101, s7
	v_fma_f64 v[118:119], v[212:213], v[120:121], v[118:119]
	v_cndmask_b32_e64 v176, v122, v98, s6
	v_cndmask_b32_e64 v178, v129, v99, s6
	v_cmp_eq_u64_e64 s6, 1, v[100:101]
	v_cndmask_b32_e64 v177, v123, v99, s5
	v_cndmask_b32_e64 v128, v128, v98, s5
	v_cndmask_b32_e32 v122, v166, v98, vcc_lo
	v_cndmask_b32_e32 v123, v167, v99, vcc_lo
	v_cmp_eq_u64_e32 vcc_lo, 2, v[100:101]
	v_cndmask_b32_e64 v120, v178, v177, s6
	v_cndmask_b32_e64 v121, v176, v128, s6
	v_cndmask_b32_e64 v124, v168, v98, s0
	v_cndmask_b32_e64 v125, v169, v99, s0
	v_cmp_eq_u64_e64 s0, 3, v[100:101]
	v_cndmask_b32_e32 v120, v120, v123, vcc_lo
	v_cndmask_b32_e32 v121, v121, v122, vcc_lo
	v_cndmask_b32_e64 v129, v170, v98, s1
	v_cndmask_b32_e64 v166, v171, v99, s1
	v_cmp_eq_u64_e64 s1, 4, v[100:101]
	v_cndmask_b32_e64 v120, v120, v125, s0
	v_cndmask_b32_e64 v121, v121, v124, s0
	v_cndmask_b32_e64 v167, v172, v98, s2
	v_cndmask_b32_e64 v168, v173, v99, s2
	v_cmp_eq_u64_e64 s2, 5, v[100:101]
	v_cndmask_b32_e64 v120, v120, v166, s1
	v_cndmask_b32_e64 v121, v121, v129, s1
	;; [unrolled: 5-line block ×4, first 2 shown]
	v_cmp_eq_u64_e64 s5, 0, v[100:101]
	v_cndmask_b32_e64 v99, v98, v163, s4
	v_cndmask_b32_e64 v98, v120, v162, s4
	v_add_f64 v[126:127], v[98:99], -v[118:119]
	v_cndmask_b32_e64 v101, v163, v127, s4
	v_cndmask_b32_e64 v100, v162, v126, s4
	;; [unrolled: 1-line block ×10, first 2 shown]
	v_cndmask_b32_e32 v123, v123, v127, vcc_lo
	v_cndmask_b32_e32 v122, v122, v126, vcc_lo
	v_cndmask_b32_e64 v129, v177, v127, s6
	v_cndmask_b32_e64 v128, v128, v126, s6
	;; [unrolled: 1-line block ×4, first 2 shown]
.LBB1_18:                               ;   in Loop: Header=BB1_10 Depth=2
	s_or_b32 exec_lo, exec_lo, s8
	global_load_dwordx2 v[162:163], v[158:159], off offset:32
	s_waitcnt vmcnt(0)
	v_lshlrev_b64 v[162:163], 3, v[162:163]
	v_add_co_u32 v162, vcc_lo, s12, v162
	v_add_co_ci_u32_e64 v163, null, s13, v163, vcc_lo
	global_load_dwordx2 v[166:167], v[160:161], off offset:32
	global_load_dwordx2 v[162:163], v[162:163], off
	s_waitcnt vmcnt(1)
	v_cmp_ne_u64_e32 vcc_lo, 0, v[166:167]
	s_waitcnt vmcnt(0)
	v_cmp_lt_i64_e64 s0, -1, v[162:163]
	s_and_b32 s0, s0, vcc_lo
	s_and_saveexec_b32 s8, s0
	s_cbranch_execz .LBB1_20
; %bb.19:                               ;   in Loop: Header=BB1_10 Depth=2
	v_lshlrev_b64 v[178:179], 5, v[162:163]
	v_lshlrev_b64 v[162:163], 8, v[162:163]
	v_add_co_u32 v166, vcc_lo, s16, v178
	v_add_co_ci_u32_e64 v167, null, s17, v179, vcc_lo
	global_load_dwordx2 v[166:167], v[166:167], off
	s_waitcnt vmcnt(0)
	v_ashrrev_i32_e32 v168, 31, v167
	v_lshrrev_b32_e32 v168, 29, v168
	v_add_co_u32 v166, vcc_lo, v166, v168
	v_add_co_ci_u32_e64 v167, null, 0, v167, vcc_lo
	v_mov_b32_e32 v168, s17
	v_ashrrev_i64 v[166:167], 3, v[166:167]
	v_cmp_eq_u64_e32 vcc_lo, v[154:155], v[166:167]
	v_mov_b32_e32 v166, s20
	v_mov_b32_e32 v167, s21
	v_cndmask_b32_e32 v166, s16, v166, vcc_lo
	v_cndmask_b32_e32 v167, s17, v167, vcc_lo
	;; [unrolled: 1-line block ×3, first 2 shown]
	v_cndmask_b32_e64 v174, 0, 0x80, vcc_lo
	v_add_co_u32 v170, s0, v166, v178
	v_add_co_ci_u32_e64 v171, null, v167, v179, s0
	v_add_co_u32 v174, s0, s22, v174
	v_add_co_ci_u32_e64 v175, null, s23, 0, s0
	s_clause 0x1
	global_load_dwordx4 v[166:169], v[170:171], off
	global_load_dwordx4 v[170:173], v[170:171], off offset:16
	v_add_co_u32 v162, s0, v174, v162
	v_add_co_ci_u32_e64 v163, null, v175, v163, s0
	v_add_co_u32 v162, s0, v162, s24
	v_add_co_ci_u32_e64 v163, null, s25, v163, s0
	global_load_dwordx4 v[174:177], v[162:163], off
	s_waitcnt vmcnt(2)
	v_lshlrev_b64 v[166:167], 3, v[166:167]
	s_waitcnt vmcnt(1)
	v_lshlrev_b64 v[170:171], 3, v[170:171]
	v_lshlrev_b64 v[190:191], 3, v[172:173]
	v_add_co_u32 v166, s0, s47, v166
	v_add_co_ci_u32_e64 v167, null, s48, v167, s0
	global_load_dwordx2 v[206:207], v[166:167], off
	v_mov_b32_e32 v166, s16
	v_cndmask_b32_e32 v181, s20, v166, vcc_lo
	v_lshlrev_b64 v[166:167], 3, v[168:169]
	v_add_co_u32 v198, vcc_lo, v181, v178
	v_add_co_ci_u32_e64 v199, null, v180, v179, vcc_lo
	v_add_co_u32 v186, vcc_lo, s47, v166
	v_add_co_ci_u32_e64 v187, null, s48, v167, vcc_lo
	global_load_dwordx4 v[166:169], v[198:199], off
	s_clause 0x1
	global_load_dwordx4 v[178:181], v[162:163], off offset:16
	global_load_dwordx4 v[182:185], v[162:163], off offset:32
	global_load_dwordx2 v[208:209], v[186:187], off
	v_add_co_u32 v170, vcc_lo, s47, v170
	v_add_co_ci_u32_e64 v171, null, s48, v171, vcc_lo
	v_add_co_u32 v190, vcc_lo, s47, v190
	v_add_co_ci_u32_e64 v191, null, s48, v191, vcc_lo
	global_load_dwordx2 v[210:211], v[170:171], off
	s_clause 0x1
	global_load_dwordx4 v[170:173], v[162:163], off offset:48
	global_load_dwordx4 v[186:189], v[162:163], off offset:64
	global_load_dwordx2 v[212:213], v[190:191], off
	s_clause 0x1
	global_load_dwordx4 v[190:193], v[162:163], off offset:80
	global_load_dwordx4 v[194:197], v[162:163], off offset:96
	;; [unrolled: 1-line block ×4, first 2 shown]
	s_waitcnt vmcnt(13)
	v_mul_f64 v[162:163], v[146:147], v[174:175]
	v_mul_f64 v[174:175], v[146:147], v[176:177]
	s_waitcnt vmcnt(12)
	v_fma_f64 v[162:163], v[162:163], v[206:207], 0
	s_waitcnt vmcnt(11)
	v_ashrrev_i32_e32 v214, 31, v167
	s_waitcnt vmcnt(10)
	v_mul_f64 v[176:177], v[146:147], v[178:179]
	s_waitcnt vmcnt(9)
	v_mul_f64 v[178:179], v[146:147], v[182:183]
	s_waitcnt vmcnt(8)
	v_fma_f64 v[162:163], v[174:175], v[208:209], v[162:163]
	v_lshrrev_b32_e32 v174, 29, v214
	s_waitcnt vmcnt(6)
	v_mul_f64 v[170:171], v[146:147], v[170:171]
	v_add_co_u32 v174, vcc_lo, v166, v174
	v_add_co_ci_u32_e64 v182, null, 0, v167, vcc_lo
	v_mul_f64 v[172:173], v[146:147], v[172:173]
	v_and_b32_e32 v183, -8, v174
	v_mul_f64 v[174:175], v[146:147], v[180:181]
	v_mul_f64 v[180:181], v[146:147], v[184:185]
	v_sub_co_u32 v166, vcc_lo, v166, v183
	v_sub_co_ci_u32_e64 v167, null, v167, v182, vcc_lo
	v_fma_f64 v[178:179], v[206:207], v[178:179], 0
	v_fma_f64 v[162:163], v[176:177], v[210:211], v[162:163]
	v_cmp_eq_u64_e32 vcc_lo, 1, v[166:167]
	v_cmp_eq_u64_e64 s0, 2, v[166:167]
	v_cmp_eq_u64_e64 s1, 3, v[166:167]
	;; [unrolled: 1-line block ×5, first 2 shown]
	v_cndmask_b32_e32 v176, v127, v129, vcc_lo
	v_cndmask_b32_e32 v177, v126, v128, vcc_lo
	v_cmp_eq_u64_e64 s5, 7, v[166:167]
	v_cndmask_b32_e64 v176, v176, v123, s0
	v_cndmask_b32_e64 v182, v177, v122, s0
	v_cndmask_b32_e64 v183, v176, v125, s1
	v_cndmask_b32_e64 v182, v182, v124, s1
	s_waitcnt vmcnt(5)
	v_mul_f64 v[176:177], v[146:147], v[186:187]
	v_fma_f64 v[178:179], v[208:209], v[180:181], v[178:179]
	s_waitcnt vmcnt(4)
	v_fma_f64 v[162:163], v[174:175], v[212:213], v[162:163]
	v_cndmask_b32_e64 v183, v183, v119, s2
	v_cndmask_b32_e64 v174, v182, v118, s2
	v_ashrrev_i32_e32 v182, 31, v169
	v_mul_f64 v[180:181], v[146:147], v[188:189]
	v_cndmask_b32_e64 v175, v183, v121, s3
	v_cndmask_b32_e64 v174, v174, v120, s3
	;; [unrolled: 1-line block ×6, first 2 shown]
	v_fma_f64 v[176:177], v[206:207], v[176:177], 0
	v_fma_f64 v[170:171], v[210:211], v[170:171], v[178:179]
	v_add_f64 v[162:163], v[174:175], -v[162:163]
	v_lshrrev_b32_e32 v174, 29, v182
	s_waitcnt vmcnt(2)
	v_mul_f64 v[178:179], v[146:147], v[194:195]
	v_add_co_u32 v174, s6, v168, v174
	v_add_co_ci_u32_e64 v182, null, 0, v169, s6
	v_cmp_eq_u64_e64 s6, 0, v[166:167]
	v_and_b32_e32 v183, -8, v174
	v_mul_f64 v[174:175], v[146:147], v[190:191]
	v_sub_co_u32 v166, s7, v168, v183
	v_sub_co_ci_u32_e64 v167, null, v169, v182, s7
	v_fma_f64 v[168:169], v[208:209], v[180:181], v[176:177]
	v_fma_f64 v[170:171], v[212:213], v[172:173], v[170:171]
	v_cndmask_b32_e64 v172, v126, v162, s6
	v_cndmask_b32_e64 v173, v127, v163, s6
	v_cmp_eq_u64_e64 s6, 1, v[166:167]
	v_cndmask_b32_e32 v129, v129, v163, vcc_lo
	v_cndmask_b32_e32 v128, v128, v162, vcc_lo
	v_cmp_eq_u64_e32 vcc_lo, 2, v[166:167]
	v_cndmask_b32_e64 v176, v122, v162, s0
	v_cndmask_b32_e64 v177, v123, v163, s0
	;; [unrolled: 1-line block ×4, first 2 shown]
	v_cmp_eq_u64_e64 s0, 3, v[166:167]
	v_cndmask_b32_e64 v180, v124, v162, s1
	v_cndmask_b32_e64 v181, v125, v163, s1
	v_cndmask_b32_e32 v122, v122, v177, vcc_lo
	v_cndmask_b32_e32 v123, v123, v176, vcc_lo
	v_cmp_eq_u64_e64 s1, 4, v[166:167]
	v_cndmask_b32_e64 v182, v118, v162, s2
	v_cndmask_b32_e64 v183, v119, v163, s2
	v_cndmask_b32_e64 v118, v122, v181, s0
	v_cndmask_b32_e64 v119, v123, v180, s0
	v_cmp_eq_u64_e64 s2, 5, v[166:167]
	v_cndmask_b32_e64 v184, v120, v162, s3
	v_cndmask_b32_e64 v185, v121, v163, s3
	v_cndmask_b32_e64 v118, v118, v183, s1
	v_cndmask_b32_e64 v119, v119, v182, s1
	;; [unrolled: 5-line block ×4, first 2 shown]
	s_waitcnt vmcnt(1)
	v_ashrrev_i32_e32 v124, 31, v199
	v_fma_f64 v[122:123], v[210:211], v[174:175], v[168:169]
	v_mul_f64 v[118:119], v[146:147], v[196:197]
	v_cndmask_b32_e64 v99, v98, v163, s4
	v_cndmask_b32_e64 v98, v100, v162, s4
	v_mul_f64 v[100:101], v[146:147], v[192:193]
	v_lshrrev_b32_e32 v124, 29, v124
	v_fma_f64 v[120:121], v[206:207], v[178:179], 0
	v_add_f64 v[98:99], v[98:99], -v[170:171]
	v_add_co_u32 v124, s5, v198, v124
	v_add_co_ci_u32_e64 v127, null, 0, v199, s5
	v_cmp_eq_u64_e64 s5, 0, v[166:167]
	v_and_b32_e32 v126, -8, v124
	s_waitcnt vmcnt(0)
	v_mul_f64 v[124:125], v[146:147], v[202:203]
	v_sub_co_u32 v126, s7, v198, v126
	v_sub_co_ci_u32_e64 v127, null, v199, v127, s7
	v_fma_f64 v[100:101], v[212:213], v[100:101], v[122:123]
	v_fma_f64 v[118:119], v[208:209], v[118:119], v[120:121]
	v_cndmask_b32_e64 v122, v172, v98, s5
	v_cndmask_b32_e64 v123, v129, v99, s6
	;; [unrolled: 1-line block ×3, first 2 shown]
	v_cmp_eq_u64_e64 s5, 1, v[126:127]
	v_cndmask_b32_e64 v128, v128, v98, s6
	v_cndmask_b32_e32 v166, v176, v98, vcc_lo
	v_cndmask_b32_e32 v167, v177, v99, vcc_lo
	v_cmp_eq_u64_e32 vcc_lo, 2, v[126:127]
	v_cndmask_b32_e64 v168, v180, v98, s0
	v_cndmask_b32_e64 v120, v129, v123, s5
	;; [unrolled: 1-line block ×4, first 2 shown]
	v_cmp_eq_u64_e64 s0, 3, v[126:127]
	v_cndmask_b32_e64 v170, v182, v98, s1
	v_cndmask_b32_e32 v120, v120, v167, vcc_lo
	v_cndmask_b32_e32 v121, v121, v166, vcc_lo
	v_cndmask_b32_e64 v171, v183, v99, s1
	v_cmp_eq_u64_e64 s1, 4, v[126:127]
	v_cndmask_b32_e64 v172, v184, v98, s2
	v_cndmask_b32_e64 v120, v120, v169, s0
	v_cndmask_b32_e64 v121, v121, v168, s0
	v_cndmask_b32_e64 v173, v185, v99, s2
	v_cmp_eq_u64_e64 s2, 5, v[126:127]
	v_cndmask_b32_e64 v174, v186, v98, s3
	v_cndmask_b32_e64 v120, v120, v171, s1
	v_cndmask_b32_e64 v121, v121, v170, s1
	;; [unrolled: 5-line block ×3, first 2 shown]
	v_cndmask_b32_e64 v163, v163, v99, s4
	v_cmp_eq_u64_e64 s4, 7, v[126:127]
	v_ashrrev_i32_e32 v176, 31, v201
	v_cndmask_b32_e64 v98, v120, v175, s3
	v_cndmask_b32_e64 v120, v121, v174, s3
	v_fma_f64 v[118:119], v[210:211], v[124:125], v[118:119]
	v_cndmask_b32_e64 v99, v98, v163, s4
	v_cndmask_b32_e64 v98, v120, v162, s4
	v_mul_f64 v[120:121], v[146:147], v[204:205]
	v_add_f64 v[98:99], v[98:99], -v[100:101]
	v_lshrrev_b32_e32 v100, 29, v176
	v_add_co_u32 v100, s6, v200, v100
	v_add_co_ci_u32_e64 v101, null, 0, v201, s6
	v_cmp_eq_u64_e64 s6, 0, v[126:127]
	v_and_b32_e32 v100, -8, v100
	v_sub_co_u32 v100, s7, v200, v100
	v_sub_co_ci_u32_e64 v101, null, v201, v101, s7
	v_fma_f64 v[118:119], v[212:213], v[120:121], v[118:119]
	v_cndmask_b32_e64 v176, v122, v98, s6
	v_cndmask_b32_e64 v178, v129, v99, s6
	v_cmp_eq_u64_e64 s6, 1, v[100:101]
	v_cndmask_b32_e64 v177, v123, v99, s5
	v_cndmask_b32_e64 v128, v128, v98, s5
	v_cndmask_b32_e32 v122, v166, v98, vcc_lo
	v_cndmask_b32_e32 v123, v167, v99, vcc_lo
	v_cmp_eq_u64_e32 vcc_lo, 2, v[100:101]
	v_cndmask_b32_e64 v120, v178, v177, s6
	v_cndmask_b32_e64 v121, v176, v128, s6
	v_cndmask_b32_e64 v124, v168, v98, s0
	v_cndmask_b32_e64 v125, v169, v99, s0
	v_cmp_eq_u64_e64 s0, 3, v[100:101]
	v_cndmask_b32_e32 v120, v120, v123, vcc_lo
	v_cndmask_b32_e32 v121, v121, v122, vcc_lo
	v_cndmask_b32_e64 v129, v170, v98, s1
	v_cndmask_b32_e64 v166, v171, v99, s1
	v_cmp_eq_u64_e64 s1, 4, v[100:101]
	v_cndmask_b32_e64 v120, v120, v125, s0
	v_cndmask_b32_e64 v121, v121, v124, s0
	v_cndmask_b32_e64 v167, v172, v98, s2
	v_cndmask_b32_e64 v168, v173, v99, s2
	v_cmp_eq_u64_e64 s2, 5, v[100:101]
	v_cndmask_b32_e64 v120, v120, v166, s1
	v_cndmask_b32_e64 v121, v121, v129, s1
	;; [unrolled: 5-line block ×4, first 2 shown]
	v_cmp_eq_u64_e64 s5, 0, v[100:101]
	v_cndmask_b32_e64 v99, v98, v163, s4
	v_cndmask_b32_e64 v98, v120, v162, s4
	v_add_f64 v[126:127], v[98:99], -v[118:119]
	v_cndmask_b32_e64 v101, v163, v127, s4
	v_cndmask_b32_e64 v100, v162, v126, s4
	;; [unrolled: 1-line block ×10, first 2 shown]
	v_cndmask_b32_e32 v123, v123, v127, vcc_lo
	v_cndmask_b32_e32 v122, v122, v126, vcc_lo
	v_cndmask_b32_e64 v129, v177, v127, s6
	v_cndmask_b32_e64 v128, v128, v126, s6
	v_cndmask_b32_e64 v127, v178, v127, s5
	v_cndmask_b32_e64 v126, v176, v126, s5
.LBB1_20:                               ;   in Loop: Header=BB1_10 Depth=2
	s_or_b32 exec_lo, exec_lo, s8
	global_load_dwordx2 v[158:159], v[158:159], off offset:40
	s_waitcnt vmcnt(0)
	v_lshlrev_b64 v[158:159], 3, v[158:159]
	v_add_co_u32 v158, vcc_lo, s12, v158
	v_add_co_ci_u32_e64 v159, null, s13, v159, vcc_lo
	global_load_dwordx2 v[160:161], v[160:161], off offset:40
	global_load_dwordx2 v[158:159], v[158:159], off
	s_waitcnt vmcnt(1)
	v_cmp_ne_u64_e32 vcc_lo, 0, v[160:161]
	s_waitcnt vmcnt(0)
	v_cmp_lt_i64_e64 s0, -1, v[158:159]
	s_and_b32 s0, s0, vcc_lo
	s_and_saveexec_b32 s8, s0
	s_cbranch_execz .LBB1_9
; %bb.21:                               ;   in Loop: Header=BB1_10 Depth=2
	v_lshlrev_b64 v[174:175], 5, v[158:159]
	v_lshlrev_b64 v[158:159], 8, v[158:159]
	v_add_co_u32 v160, vcc_lo, s16, v174
	v_add_co_ci_u32_e64 v161, null, s17, v175, vcc_lo
	global_load_dwordx2 v[160:161], v[160:161], off
	s_waitcnt vmcnt(0)
	v_ashrrev_i32_e32 v162, 31, v161
	v_lshrrev_b32_e32 v162, 29, v162
	v_add_co_u32 v160, vcc_lo, v160, v162
	v_add_co_ci_u32_e64 v161, null, 0, v161, vcc_lo
	v_mov_b32_e32 v162, s17
	v_ashrrev_i64 v[160:161], 3, v[160:161]
	v_cmp_eq_u64_e32 vcc_lo, v[154:155], v[160:161]
	v_mov_b32_e32 v160, s20
	v_mov_b32_e32 v161, s21
	v_cndmask_b32_e32 v160, s16, v160, vcc_lo
	v_cndmask_b32_e32 v161, s17, v161, vcc_lo
	;; [unrolled: 1-line block ×3, first 2 shown]
	v_cndmask_b32_e64 v170, 0, 0x80, vcc_lo
	v_add_co_u32 v166, s0, v160, v174
	v_add_co_ci_u32_e64 v167, null, v161, v175, s0
	v_add_co_u32 v170, s0, s22, v170
	v_add_co_ci_u32_e64 v171, null, s23, 0, s0
	s_clause 0x1
	global_load_dwordx4 v[160:163], v[166:167], off
	global_load_dwordx4 v[166:169], v[166:167], off offset:16
	v_add_co_u32 v158, s0, v170, v158
	v_add_co_ci_u32_e64 v159, null, v171, v159, s0
	v_add_co_u32 v198, s0, v158, s24
	v_add_co_ci_u32_e64 v199, null, s25, v159, s0
	global_load_dwordx4 v[170:173], v[198:199], off
	s_waitcnt vmcnt(2)
	v_lshlrev_b64 v[158:159], 3, v[160:161]
	s_waitcnt vmcnt(1)
	v_lshlrev_b64 v[166:167], 3, v[166:167]
	v_lshlrev_b64 v[186:187], 3, v[168:169]
	v_add_co_u32 v158, s0, s47, v158
	v_add_co_ci_u32_e64 v159, null, s48, v159, s0
	global_load_dwordx2 v[202:203], v[158:159], off
	v_mov_b32_e32 v158, s16
	v_cndmask_b32_e32 v160, s20, v158, vcc_lo
	v_lshlrev_b64 v[158:159], 3, v[162:163]
	v_add_co_u32 v162, vcc_lo, v160, v174
	v_add_co_ci_u32_e64 v163, null, v176, v175, vcc_lo
	v_add_co_u32 v182, vcc_lo, s47, v158
	v_add_co_ci_u32_e64 v183, null, s48, v159, vcc_lo
	global_load_dwordx4 v[158:161], v[162:163], off
	s_clause 0x1
	global_load_dwordx4 v[174:177], v[198:199], off offset:16
	global_load_dwordx4 v[178:181], v[198:199], off offset:32
	global_load_dwordx2 v[204:205], v[182:183], off
	v_add_co_u32 v166, vcc_lo, s47, v166
	v_add_co_ci_u32_e64 v167, null, s48, v167, vcc_lo
	v_add_co_u32 v186, vcc_lo, s47, v186
	v_add_co_ci_u32_e64 v187, null, s48, v187, vcc_lo
	global_load_dwordx2 v[206:207], v[166:167], off
	s_clause 0x1
	global_load_dwordx4 v[166:169], v[198:199], off offset:48
	global_load_dwordx4 v[182:185], v[198:199], off offset:64
	global_load_dwordx2 v[208:209], v[186:187], off
	s_clause 0x1
	global_load_dwordx4 v[186:189], v[198:199], off offset:80
	global_load_dwordx4 v[190:193], v[198:199], off offset:96
	;; [unrolled: 1-line block ×4, first 2 shown]
	s_waitcnt vmcnt(13)
	v_mul_f64 v[162:163], v[146:147], v[170:171]
	v_mul_f64 v[170:171], v[146:147], v[172:173]
	s_waitcnt vmcnt(12)
	v_fma_f64 v[162:163], v[162:163], v[202:203], 0
	s_waitcnt vmcnt(11)
	v_ashrrev_i32_e32 v210, 31, v159
	s_waitcnt vmcnt(10)
	v_mul_f64 v[172:173], v[146:147], v[174:175]
	s_waitcnt vmcnt(9)
	v_mul_f64 v[174:175], v[146:147], v[178:179]
	s_waitcnt vmcnt(8)
	v_fma_f64 v[162:163], v[170:171], v[204:205], v[162:163]
	v_lshrrev_b32_e32 v170, 29, v210
	s_waitcnt vmcnt(6)
	v_mul_f64 v[166:167], v[146:147], v[166:167]
	v_add_co_u32 v170, vcc_lo, v158, v170
	v_add_co_ci_u32_e64 v178, null, 0, v159, vcc_lo
	v_mul_f64 v[168:169], v[146:147], v[168:169]
	v_and_b32_e32 v179, -8, v170
	v_mul_f64 v[170:171], v[146:147], v[176:177]
	v_mul_f64 v[176:177], v[146:147], v[180:181]
	v_sub_co_u32 v158, vcc_lo, v158, v179
	v_sub_co_ci_u32_e64 v159, null, v159, v178, vcc_lo
	v_fma_f64 v[174:175], v[202:203], v[174:175], 0
	v_fma_f64 v[162:163], v[172:173], v[206:207], v[162:163]
	v_cmp_eq_u64_e32 vcc_lo, 1, v[158:159]
	v_cmp_eq_u64_e64 s0, 2, v[158:159]
	v_cmp_eq_u64_e64 s1, 3, v[158:159]
	;; [unrolled: 1-line block ×5, first 2 shown]
	v_cndmask_b32_e32 v172, v127, v129, vcc_lo
	v_cndmask_b32_e32 v173, v126, v128, vcc_lo
	v_cmp_eq_u64_e64 s5, 7, v[158:159]
	v_cndmask_b32_e64 v172, v172, v123, s0
	v_cndmask_b32_e64 v178, v173, v122, s0
	v_cndmask_b32_e64 v179, v172, v125, s1
	v_cndmask_b32_e64 v178, v178, v124, s1
	s_waitcnt vmcnt(5)
	v_mul_f64 v[172:173], v[146:147], v[182:183]
	v_fma_f64 v[174:175], v[204:205], v[176:177], v[174:175]
	s_waitcnt vmcnt(4)
	v_fma_f64 v[162:163], v[170:171], v[208:209], v[162:163]
	v_cndmask_b32_e64 v179, v179, v119, s2
	v_cndmask_b32_e64 v170, v178, v118, s2
	v_ashrrev_i32_e32 v178, 31, v161
	v_mul_f64 v[176:177], v[146:147], v[184:185]
	v_cndmask_b32_e64 v171, v179, v121, s3
	v_cndmask_b32_e64 v170, v170, v120, s3
	;; [unrolled: 1-line block ×6, first 2 shown]
	v_fma_f64 v[172:173], v[202:203], v[172:173], 0
	v_fma_f64 v[166:167], v[206:207], v[166:167], v[174:175]
	v_add_f64 v[162:163], v[170:171], -v[162:163]
	v_lshrrev_b32_e32 v170, 29, v178
	s_waitcnt vmcnt(2)
	v_mul_f64 v[174:175], v[146:147], v[190:191]
	v_add_co_u32 v170, s6, v160, v170
	v_add_co_ci_u32_e64 v178, null, 0, v161, s6
	v_cmp_eq_u64_e64 s6, 0, v[158:159]
	v_and_b32_e32 v179, -8, v170
	v_mul_f64 v[170:171], v[146:147], v[186:187]
	v_sub_co_u32 v158, s7, v160, v179
	v_sub_co_ci_u32_e64 v159, null, v161, v178, s7
	v_fma_f64 v[160:161], v[204:205], v[176:177], v[172:173]
	v_fma_f64 v[166:167], v[208:209], v[168:169], v[166:167]
	v_cndmask_b32_e64 v168, v126, v162, s6
	v_cndmask_b32_e64 v169, v127, v163, s6
	v_cmp_eq_u64_e64 s6, 1, v[158:159]
	v_cndmask_b32_e32 v129, v129, v163, vcc_lo
	v_cndmask_b32_e32 v128, v128, v162, vcc_lo
	v_cmp_eq_u64_e32 vcc_lo, 2, v[158:159]
	v_cndmask_b32_e64 v172, v122, v162, s0
	v_cndmask_b32_e64 v173, v123, v163, s0
	v_cndmask_b32_e64 v122, v169, v129, s6
	v_cndmask_b32_e64 v123, v168, v128, s6
	v_cmp_eq_u64_e64 s0, 3, v[158:159]
	v_cndmask_b32_e64 v176, v124, v162, s1
	v_cndmask_b32_e64 v177, v125, v163, s1
	v_cndmask_b32_e32 v122, v122, v173, vcc_lo
	v_cndmask_b32_e32 v123, v123, v172, vcc_lo
	v_cmp_eq_u64_e64 s1, 4, v[158:159]
	v_cndmask_b32_e64 v178, v118, v162, s2
	v_cndmask_b32_e64 v179, v119, v163, s2
	v_cndmask_b32_e64 v118, v122, v177, s0
	v_cndmask_b32_e64 v119, v123, v176, s0
	v_cmp_eq_u64_e64 s2, 5, v[158:159]
	v_cndmask_b32_e64 v180, v120, v162, s3
	v_cndmask_b32_e64 v181, v121, v163, s3
	v_cndmask_b32_e64 v118, v118, v179, s1
	v_cndmask_b32_e64 v119, v119, v178, s1
	;; [unrolled: 5-line block ×4, first 2 shown]
	s_waitcnt vmcnt(1)
	v_ashrrev_i32_e32 v124, 31, v195
	v_fma_f64 v[122:123], v[206:207], v[170:171], v[160:161]
	v_mul_f64 v[118:119], v[146:147], v[192:193]
	v_cndmask_b32_e64 v99, v98, v163, s4
	v_cndmask_b32_e64 v98, v100, v162, s4
	v_mul_f64 v[100:101], v[146:147], v[188:189]
	v_lshrrev_b32_e32 v124, 29, v124
	v_fma_f64 v[120:121], v[202:203], v[174:175], 0
	v_add_f64 v[98:99], v[98:99], -v[166:167]
	v_add_co_u32 v124, s5, v194, v124
	v_add_co_ci_u32_e64 v127, null, 0, v195, s5
	v_cmp_eq_u64_e64 s5, 0, v[158:159]
	v_and_b32_e32 v126, -8, v124
	s_waitcnt vmcnt(0)
	v_mul_f64 v[124:125], v[146:147], v[198:199]
	v_sub_co_u32 v126, s7, v194, v126
	v_sub_co_ci_u32_e64 v127, null, v195, v127, s7
	v_fma_f64 v[100:101], v[208:209], v[100:101], v[122:123]
	v_fma_f64 v[118:119], v[204:205], v[118:119], v[120:121]
	v_cndmask_b32_e64 v122, v168, v98, s5
	v_cndmask_b32_e64 v123, v129, v99, s6
	;; [unrolled: 1-line block ×3, first 2 shown]
	v_cmp_eq_u64_e64 s5, 1, v[126:127]
	v_cndmask_b32_e64 v128, v128, v98, s6
	v_cndmask_b32_e32 v158, v172, v98, vcc_lo
	v_cndmask_b32_e32 v159, v173, v99, vcc_lo
	v_cmp_eq_u64_e32 vcc_lo, 2, v[126:127]
	v_cndmask_b32_e64 v160, v176, v98, s0
	v_cndmask_b32_e64 v120, v129, v123, s5
	;; [unrolled: 1-line block ×4, first 2 shown]
	v_cmp_eq_u64_e64 s0, 3, v[126:127]
	v_cndmask_b32_e64 v166, v178, v98, s1
	v_cndmask_b32_e32 v120, v120, v159, vcc_lo
	v_cndmask_b32_e32 v121, v121, v158, vcc_lo
	v_cndmask_b32_e64 v167, v179, v99, s1
	v_cmp_eq_u64_e64 s1, 4, v[126:127]
	v_cndmask_b32_e64 v168, v180, v98, s2
	v_cndmask_b32_e64 v120, v120, v161, s0
	v_cndmask_b32_e64 v121, v121, v160, s0
	v_cndmask_b32_e64 v169, v181, v99, s2
	v_cmp_eq_u64_e64 s2, 5, v[126:127]
	v_cndmask_b32_e64 v170, v182, v98, s3
	v_cndmask_b32_e64 v120, v120, v167, s1
	v_cndmask_b32_e64 v121, v121, v166, s1
	;; [unrolled: 5-line block ×3, first 2 shown]
	v_cndmask_b32_e64 v163, v163, v99, s4
	v_cmp_eq_u64_e64 s4, 7, v[126:127]
	v_ashrrev_i32_e32 v172, 31, v197
	v_cndmask_b32_e64 v98, v120, v171, s3
	v_cndmask_b32_e64 v120, v121, v170, s3
	v_fma_f64 v[118:119], v[206:207], v[124:125], v[118:119]
	v_cndmask_b32_e64 v99, v98, v163, s4
	v_cndmask_b32_e64 v98, v120, v162, s4
	v_mul_f64 v[120:121], v[146:147], v[200:201]
	v_add_f64 v[98:99], v[98:99], -v[100:101]
	v_lshrrev_b32_e32 v100, 29, v172
	v_add_co_u32 v100, s6, v196, v100
	v_add_co_ci_u32_e64 v101, null, 0, v197, s6
	v_cmp_eq_u64_e64 s6, 0, v[126:127]
	v_and_b32_e32 v100, -8, v100
	v_sub_co_u32 v100, s7, v196, v100
	v_sub_co_ci_u32_e64 v101, null, v197, v101, s7
	v_fma_f64 v[118:119], v[208:209], v[120:121], v[118:119]
	v_cndmask_b32_e64 v172, v122, v98, s6
	v_cndmask_b32_e64 v174, v129, v99, s6
	v_cmp_eq_u64_e64 s6, 1, v[100:101]
	v_cndmask_b32_e64 v173, v123, v99, s5
	v_cndmask_b32_e64 v128, v128, v98, s5
	v_cndmask_b32_e32 v122, v158, v98, vcc_lo
	v_cndmask_b32_e32 v123, v159, v99, vcc_lo
	v_cmp_eq_u64_e32 vcc_lo, 2, v[100:101]
	v_cndmask_b32_e64 v120, v174, v173, s6
	v_cndmask_b32_e64 v121, v172, v128, s6
	v_cndmask_b32_e64 v124, v160, v98, s0
	v_cndmask_b32_e64 v125, v161, v99, s0
	v_cmp_eq_u64_e64 s0, 3, v[100:101]
	v_cndmask_b32_e32 v120, v120, v123, vcc_lo
	v_cndmask_b32_e32 v121, v121, v122, vcc_lo
	v_cndmask_b32_e64 v129, v166, v98, s1
	v_cndmask_b32_e64 v158, v167, v99, s1
	v_cmp_eq_u64_e64 s1, 4, v[100:101]
	v_cndmask_b32_e64 v120, v120, v125, s0
	v_cndmask_b32_e64 v121, v121, v124, s0
	v_cndmask_b32_e64 v159, v168, v98, s2
	v_cndmask_b32_e64 v160, v169, v99, s2
	v_cmp_eq_u64_e64 s2, 5, v[100:101]
	v_cndmask_b32_e64 v120, v120, v158, s1
	v_cndmask_b32_e64 v121, v121, v129, s1
	;; [unrolled: 5-line block ×4, first 2 shown]
	v_cmp_eq_u64_e64 s5, 0, v[100:101]
	v_cndmask_b32_e64 v99, v98, v163, s4
	v_cndmask_b32_e64 v98, v120, v162, s4
	v_add_f64 v[126:127], v[98:99], -v[118:119]
	v_cndmask_b32_e64 v101, v163, v127, s4
	v_cndmask_b32_e64 v100, v162, v126, s4
	;; [unrolled: 1-line block ×10, first 2 shown]
	v_cndmask_b32_e32 v123, v123, v127, vcc_lo
	v_cndmask_b32_e32 v122, v122, v126, vcc_lo
	v_cndmask_b32_e64 v129, v173, v127, s6
	v_cndmask_b32_e64 v128, v128, v126, s6
	;; [unrolled: 1-line block ×4, first 2 shown]
	s_branch .LBB1_9
.LBB1_22:
	s_endpgm
	.section	.rodata,"a",@progbits
	.p2align	6, 0x0
	.amdhsa_kernel _ZN4RAJA34launch_new_reduce_global_fcn_fixedIZN8rajaperf4apps8FEMSWEEP17runHipVariantImplILm64EEEvNS1_9VariantIDEEUlNS_14LaunchContextTINS_3hip33LaunchContextIndicesAndDimsPolicyINS7_14IndicesAndDimsILb0ELb0ELb0ELb0EEEEEEEE_Li64ENS_4expt15ForallParamPackIJEEEEEvT_T1_
		.amdhsa_group_segment_fixed_size 0
		.amdhsa_private_segment_fixed_size 0
		.amdhsa_kernarg_size 156
		.amdhsa_user_sgpr_count 6
		.amdhsa_user_sgpr_private_segment_buffer 1
		.amdhsa_user_sgpr_dispatch_ptr 0
		.amdhsa_user_sgpr_queue_ptr 0
		.amdhsa_user_sgpr_kernarg_segment_ptr 1
		.amdhsa_user_sgpr_dispatch_id 0
		.amdhsa_user_sgpr_flat_scratch_init 0
		.amdhsa_user_sgpr_private_segment_size 0
		.amdhsa_wavefront_size32 1
		.amdhsa_uses_dynamic_stack 0
		.amdhsa_system_sgpr_private_segment_wavefront_offset 0
		.amdhsa_system_sgpr_workgroup_id_x 1
		.amdhsa_system_sgpr_workgroup_id_y 1
		.amdhsa_system_sgpr_workgroup_id_z 0
		.amdhsa_system_sgpr_workgroup_info 0
		.amdhsa_system_vgpr_workitem_id 0
		.amdhsa_next_free_vgpr 236
		.amdhsa_next_free_sgpr 58
		.amdhsa_reserve_vcc 1
		.amdhsa_reserve_flat_scratch 0
		.amdhsa_float_round_mode_32 0
		.amdhsa_float_round_mode_16_64 0
		.amdhsa_float_denorm_mode_32 3
		.amdhsa_float_denorm_mode_16_64 3
		.amdhsa_dx10_clamp 1
		.amdhsa_ieee_mode 1
		.amdhsa_fp16_overflow 0
		.amdhsa_workgroup_processor_mode 1
		.amdhsa_memory_ordered 1
		.amdhsa_forward_progress 1
		.amdhsa_shared_vgpr_count 0
		.amdhsa_exception_fp_ieee_invalid_op 0
		.amdhsa_exception_fp_denorm_src 0
		.amdhsa_exception_fp_ieee_div_zero 0
		.amdhsa_exception_fp_ieee_overflow 0
		.amdhsa_exception_fp_ieee_underflow 0
		.amdhsa_exception_fp_ieee_inexact 0
		.amdhsa_exception_int_div_zero 0
	.end_amdhsa_kernel
	.section	.text._ZN4RAJA34launch_new_reduce_global_fcn_fixedIZN8rajaperf4apps8FEMSWEEP17runHipVariantImplILm64EEEvNS1_9VariantIDEEUlNS_14LaunchContextTINS_3hip33LaunchContextIndicesAndDimsPolicyINS7_14IndicesAndDimsILb0ELb0ELb0ELb0EEEEEEEE_Li64ENS_4expt15ForallParamPackIJEEEEEvT_T1_,"axG",@progbits,_ZN4RAJA34launch_new_reduce_global_fcn_fixedIZN8rajaperf4apps8FEMSWEEP17runHipVariantImplILm64EEEvNS1_9VariantIDEEUlNS_14LaunchContextTINS_3hip33LaunchContextIndicesAndDimsPolicyINS7_14IndicesAndDimsILb0ELb0ELb0ELb0EEEEEEEE_Li64ENS_4expt15ForallParamPackIJEEEEEvT_T1_,comdat
.Lfunc_end1:
	.size	_ZN4RAJA34launch_new_reduce_global_fcn_fixedIZN8rajaperf4apps8FEMSWEEP17runHipVariantImplILm64EEEvNS1_9VariantIDEEUlNS_14LaunchContextTINS_3hip33LaunchContextIndicesAndDimsPolicyINS7_14IndicesAndDimsILb0ELb0ELb0ELb0EEEEEEEE_Li64ENS_4expt15ForallParamPackIJEEEEEvT_T1_, .Lfunc_end1-_ZN4RAJA34launch_new_reduce_global_fcn_fixedIZN8rajaperf4apps8FEMSWEEP17runHipVariantImplILm64EEEvNS1_9VariantIDEEUlNS_14LaunchContextTINS_3hip33LaunchContextIndicesAndDimsPolicyINS7_14IndicesAndDimsILb0ELb0ELb0ELb0EEEEEEEE_Li64ENS_4expt15ForallParamPackIJEEEEEvT_T1_
                                        ; -- End function
	.set _ZN4RAJA34launch_new_reduce_global_fcn_fixedIZN8rajaperf4apps8FEMSWEEP17runHipVariantImplILm64EEEvNS1_9VariantIDEEUlNS_14LaunchContextTINS_3hip33LaunchContextIndicesAndDimsPolicyINS7_14IndicesAndDimsILb0ELb0ELb0ELb0EEEEEEEE_Li64ENS_4expt15ForallParamPackIJEEEEEvT_T1_.num_vgpr, 236
	.set _ZN4RAJA34launch_new_reduce_global_fcn_fixedIZN8rajaperf4apps8FEMSWEEP17runHipVariantImplILm64EEEvNS1_9VariantIDEEUlNS_14LaunchContextTINS_3hip33LaunchContextIndicesAndDimsPolicyINS7_14IndicesAndDimsILb0ELb0ELb0ELb0EEEEEEEE_Li64ENS_4expt15ForallParamPackIJEEEEEvT_T1_.num_agpr, 0
	.set _ZN4RAJA34launch_new_reduce_global_fcn_fixedIZN8rajaperf4apps8FEMSWEEP17runHipVariantImplILm64EEEvNS1_9VariantIDEEUlNS_14LaunchContextTINS_3hip33LaunchContextIndicesAndDimsPolicyINS7_14IndicesAndDimsILb0ELb0ELb0ELb0EEEEEEEE_Li64ENS_4expt15ForallParamPackIJEEEEEvT_T1_.numbered_sgpr, 58
	.set _ZN4RAJA34launch_new_reduce_global_fcn_fixedIZN8rajaperf4apps8FEMSWEEP17runHipVariantImplILm64EEEvNS1_9VariantIDEEUlNS_14LaunchContextTINS_3hip33LaunchContextIndicesAndDimsPolicyINS7_14IndicesAndDimsILb0ELb0ELb0ELb0EEEEEEEE_Li64ENS_4expt15ForallParamPackIJEEEEEvT_T1_.num_named_barrier, 0
	.set _ZN4RAJA34launch_new_reduce_global_fcn_fixedIZN8rajaperf4apps8FEMSWEEP17runHipVariantImplILm64EEEvNS1_9VariantIDEEUlNS_14LaunchContextTINS_3hip33LaunchContextIndicesAndDimsPolicyINS7_14IndicesAndDimsILb0ELb0ELb0ELb0EEEEEEEE_Li64ENS_4expt15ForallParamPackIJEEEEEvT_T1_.private_seg_size, 0
	.set _ZN4RAJA34launch_new_reduce_global_fcn_fixedIZN8rajaperf4apps8FEMSWEEP17runHipVariantImplILm64EEEvNS1_9VariantIDEEUlNS_14LaunchContextTINS_3hip33LaunchContextIndicesAndDimsPolicyINS7_14IndicesAndDimsILb0ELb0ELb0ELb0EEEEEEEE_Li64ENS_4expt15ForallParamPackIJEEEEEvT_T1_.uses_vcc, 1
	.set _ZN4RAJA34launch_new_reduce_global_fcn_fixedIZN8rajaperf4apps8FEMSWEEP17runHipVariantImplILm64EEEvNS1_9VariantIDEEUlNS_14LaunchContextTINS_3hip33LaunchContextIndicesAndDimsPolicyINS7_14IndicesAndDimsILb0ELb0ELb0ELb0EEEEEEEE_Li64ENS_4expt15ForallParamPackIJEEEEEvT_T1_.uses_flat_scratch, 0
	.set _ZN4RAJA34launch_new_reduce_global_fcn_fixedIZN8rajaperf4apps8FEMSWEEP17runHipVariantImplILm64EEEvNS1_9VariantIDEEUlNS_14LaunchContextTINS_3hip33LaunchContextIndicesAndDimsPolicyINS7_14IndicesAndDimsILb0ELb0ELb0ELb0EEEEEEEE_Li64ENS_4expt15ForallParamPackIJEEEEEvT_T1_.has_dyn_sized_stack, 0
	.set _ZN4RAJA34launch_new_reduce_global_fcn_fixedIZN8rajaperf4apps8FEMSWEEP17runHipVariantImplILm64EEEvNS1_9VariantIDEEUlNS_14LaunchContextTINS_3hip33LaunchContextIndicesAndDimsPolicyINS7_14IndicesAndDimsILb0ELb0ELb0ELb0EEEEEEEE_Li64ENS_4expt15ForallParamPackIJEEEEEvT_T1_.has_recursion, 0
	.set _ZN4RAJA34launch_new_reduce_global_fcn_fixedIZN8rajaperf4apps8FEMSWEEP17runHipVariantImplILm64EEEvNS1_9VariantIDEEUlNS_14LaunchContextTINS_3hip33LaunchContextIndicesAndDimsPolicyINS7_14IndicesAndDimsILb0ELb0ELb0ELb0EEEEEEEE_Li64ENS_4expt15ForallParamPackIJEEEEEvT_T1_.has_indirect_call, 0
	.section	.AMDGPU.csdata,"",@progbits
; Kernel info:
; codeLenInByte = 21616
; TotalNumSgprs: 60
; NumVgprs: 236
; ScratchSize: 0
; MemoryBound: 0
; FloatMode: 240
; IeeeMode: 1
; LDSByteSize: 0 bytes/workgroup (compile time only)
; SGPRBlocks: 0
; VGPRBlocks: 29
; NumSGPRsForWavesPerEU: 60
; NumVGPRsForWavesPerEU: 236
; Occupancy: 4
; WaveLimiterHint : 1
; COMPUTE_PGM_RSRC2:SCRATCH_EN: 0
; COMPUTE_PGM_RSRC2:USER_SGPR: 6
; COMPUTE_PGM_RSRC2:TRAP_HANDLER: 0
; COMPUTE_PGM_RSRC2:TGID_X_EN: 1
; COMPUTE_PGM_RSRC2:TGID_Y_EN: 1
; COMPUTE_PGM_RSRC2:TGID_Z_EN: 0
; COMPUTE_PGM_RSRC2:TIDIG_COMP_CNT: 0
	.section	.AMDGPU.gpr_maximums,"",@progbits
	.set amdgpu.max_num_vgpr, 0
	.set amdgpu.max_num_agpr, 0
	.set amdgpu.max_num_sgpr, 0
	.section	.AMDGPU.csdata,"",@progbits
	.type	__hip_cuid_f8ef7f65329020d8,@object ; @__hip_cuid_f8ef7f65329020d8
	.section	.bss,"aw",@nobits
	.globl	__hip_cuid_f8ef7f65329020d8
__hip_cuid_f8ef7f65329020d8:
	.byte	0                               ; 0x0
	.size	__hip_cuid_f8ef7f65329020d8, 1

	.ident	"AMD clang version 22.0.0git (https://github.com/RadeonOpenCompute/llvm-project roc-7.2.4 26084 f58b06dce1f9c15707c5f808fd002e18c2accf7e)"
	.section	".note.GNU-stack","",@progbits
	.addrsig
	.addrsig_sym __hip_cuid_f8ef7f65329020d8
	.amdgpu_metadata
---
amdhsa.kernels:
  - .args:
      - .address_space:  global
        .offset:         0
        .size:           8
        .value_kind:     global_buffer
      - .address_space:  global
        .offset:         8
        .size:           8
        .value_kind:     global_buffer
      - .address_space:  global
        .offset:         16
        .size:           8
        .value_kind:     global_buffer
      - .address_space:  global
        .offset:         24
        .size:           8
        .value_kind:     global_buffer
      - .address_space:  global
        .offset:         32
        .size:           8
        .value_kind:     global_buffer
      - .address_space:  global
        .offset:         40
        .size:           8
        .value_kind:     global_buffer
      - .offset:         48
        .size:           8
        .value_kind:     by_value
      - .offset:         56
        .size:           8
        .value_kind:     by_value
      - .offset:         64
        .size:           8
        .value_kind:     by_value
      - .address_space:  global
        .offset:         72
        .size:           8
        .value_kind:     global_buffer
      - .address_space:  global
        .offset:         80
        .size:           8
        .value_kind:     global_buffer
      - .address_space:  global
        .offset:         88
        .size:           8
        .value_kind:     global_buffer
      - .address_space:  global
        .offset:         96
        .size:           8
        .value_kind:     global_buffer
      - .address_space:  global
        .offset:         104
        .size:           8
        .value_kind:     global_buffer
      - .address_space:  global
        .offset:         112
        .size:           8
        .value_kind:     global_buffer
      - .address_space:  global
        .offset:         120
        .size:           8
        .value_kind:     global_buffer
      - .address_space:  global
        .offset:         128
        .size:           8
        .value_kind:     global_buffer
      - .address_space:  global
        .offset:         136
        .size:           8
        .value_kind:     global_buffer
    .group_segment_fixed_size: 0
    .kernarg_segment_align: 8
    .kernarg_segment_size: 144
    .language:       OpenCL C
    .language_version:
      - 2
      - 0
    .max_flat_workgroup_size: 64
    .name:           _ZN8rajaperf4apps10FEMSweep3DILm64EEEvPdS2_S2_S2_S2_S2_lllPlS3_S3_S3_S3_S3_S3_S3_S3_
    .private_segment_fixed_size: 0
    .sgpr_count:     56
    .sgpr_spill_count: 0
    .symbol:         _ZN8rajaperf4apps10FEMSweep3DILm64EEEvPdS2_S2_S2_S2_S2_lllPlS3_S3_S3_S3_S3_S3_S3_S3_.kd
    .uniform_work_group_size: 1
    .uses_dynamic_stack: false
    .vgpr_count:     236
    .vgpr_spill_count: 0
    .wavefront_size: 32
    .workgroup_processor_mode: 1
  - .args:
      - .offset:         0
        .size:           152
        .value_kind:     by_value
      - .offset:         152
        .size:           1
        .value_kind:     by_value
    .group_segment_fixed_size: 0
    .kernarg_segment_align: 8
    .kernarg_segment_size: 156
    .language:       OpenCL C
    .language_version:
      - 2
      - 0
    .max_flat_workgroup_size: 64
    .name:           _ZN4RAJA34launch_new_reduce_global_fcn_fixedIZN8rajaperf4apps8FEMSWEEP17runHipVariantImplILm64EEEvNS1_9VariantIDEEUlNS_14LaunchContextTINS_3hip33LaunchContextIndicesAndDimsPolicyINS7_14IndicesAndDimsILb0ELb0ELb0ELb0EEEEEEEE_Li64ENS_4expt15ForallParamPackIJEEEEEvT_T1_
    .private_segment_fixed_size: 0
    .sgpr_count:     60
    .sgpr_spill_count: 0
    .symbol:         _ZN4RAJA34launch_new_reduce_global_fcn_fixedIZN8rajaperf4apps8FEMSWEEP17runHipVariantImplILm64EEEvNS1_9VariantIDEEUlNS_14LaunchContextTINS_3hip33LaunchContextIndicesAndDimsPolicyINS7_14IndicesAndDimsILb0ELb0ELb0ELb0EEEEEEEE_Li64ENS_4expt15ForallParamPackIJEEEEEvT_T1_.kd
    .uniform_work_group_size: 1
    .uses_dynamic_stack: false
    .vgpr_count:     236
    .vgpr_spill_count: 0
    .wavefront_size: 32
    .workgroup_processor_mode: 1
amdhsa.target:   amdgcn-amd-amdhsa--gfx1030
amdhsa.version:
  - 1
  - 2
...

	.end_amdgpu_metadata
